;; amdgpu-corpus repo=ROCm/rocFFT kind=compiled arch=gfx950 opt=O3
	.text
	.amdgcn_target "amdgcn-amd-amdhsa--gfx950"
	.amdhsa_code_object_version 6
	.protected	fft_rtc_back_len1680_factors_2_2_2_2_3_7_5_wgs_112_tpt_112_halfLds_dp_op_CI_CI_unitstride_sbrr_C2R_dirReg ; -- Begin function fft_rtc_back_len1680_factors_2_2_2_2_3_7_5_wgs_112_tpt_112_halfLds_dp_op_CI_CI_unitstride_sbrr_C2R_dirReg
	.globl	fft_rtc_back_len1680_factors_2_2_2_2_3_7_5_wgs_112_tpt_112_halfLds_dp_op_CI_CI_unitstride_sbrr_C2R_dirReg
	.p2align	8
	.type	fft_rtc_back_len1680_factors_2_2_2_2_3_7_5_wgs_112_tpt_112_halfLds_dp_op_CI_CI_unitstride_sbrr_C2R_dirReg,@function
fft_rtc_back_len1680_factors_2_2_2_2_3_7_5_wgs_112_tpt_112_halfLds_dp_op_CI_CI_unitstride_sbrr_C2R_dirReg: ; @fft_rtc_back_len1680_factors_2_2_2_2_3_7_5_wgs_112_tpt_112_halfLds_dp_op_CI_CI_unitstride_sbrr_C2R_dirReg
; %bb.0:
	s_load_dwordx4 s[4:7], s[0:1], 0x58
	s_load_dwordx4 s[8:11], s[0:1], 0x0
	;; [unrolled: 1-line block ×3, first 2 shown]
	v_mul_u32_u24_e32 v1, 0x24a, v0
	v_add_u32_sdwa v6, s2, v1 dst_sel:DWORD dst_unused:UNUSED_PAD src0_sel:DWORD src1_sel:WORD_1
	v_mov_b32_e32 v4, 0
	s_waitcnt lgkmcnt(0)
	v_cmp_lt_u64_e64 s[2:3], s[10:11], 2
	v_mov_b32_e32 v7, v4
	s_and_b64 vcc, exec, s[2:3]
	v_mov_b64_e32 v[2:3], 0
	s_cbranch_vccnz .LBB0_8
; %bb.1:
	s_load_dwordx2 s[2:3], s[0:1], 0x10
	s_add_u32 s16, s14, 8
	s_addc_u32 s17, s15, 0
	s_add_u32 s18, s12, 8
	s_addc_u32 s19, s13, 0
	s_waitcnt lgkmcnt(0)
	s_add_u32 s20, s2, 8
	v_mov_b64_e32 v[2:3], 0
	s_addc_u32 s21, s3, 0
	s_mov_b64 s[22:23], 1
	v_mov_b64_e32 v[84:85], v[2:3]
.LBB0_2:                                ; =>This Inner Loop Header: Depth=1
	s_load_dwordx2 s[24:25], s[20:21], 0x0
                                        ; implicit-def: $vgpr86_vgpr87
	s_waitcnt lgkmcnt(0)
	v_or_b32_e32 v5, s25, v7
	v_cmp_ne_u64_e32 vcc, 0, v[4:5]
	s_and_saveexec_b64 s[2:3], vcc
	s_xor_b64 s[26:27], exec, s[2:3]
	s_cbranch_execz .LBB0_4
; %bb.3:                                ;   in Loop: Header=BB0_2 Depth=1
	v_cvt_f32_u32_e32 v1, s24
	v_cvt_f32_u32_e32 v5, s25
	s_sub_u32 s2, 0, s24
	s_subb_u32 s3, 0, s25
	v_fmac_f32_e32 v1, 0x4f800000, v5
	v_rcp_f32_e32 v1, v1
	s_nop 0
	v_mul_f32_e32 v1, 0x5f7ffffc, v1
	v_mul_f32_e32 v5, 0x2f800000, v1
	v_trunc_f32_e32 v5, v5
	v_fmac_f32_e32 v1, 0xcf800000, v5
	v_cvt_u32_f32_e32 v5, v5
	v_cvt_u32_f32_e32 v1, v1
	v_mul_lo_u32 v8, s2, v5
	v_mul_hi_u32 v10, s2, v1
	v_mul_lo_u32 v9, s3, v1
	v_add_u32_e32 v10, v10, v8
	v_mul_lo_u32 v12, s2, v1
	v_add_u32_e32 v13, v10, v9
	v_mul_hi_u32 v8, v1, v12
	v_mul_hi_u32 v11, v1, v13
	v_mul_lo_u32 v10, v1, v13
	v_mov_b32_e32 v9, v4
	v_lshl_add_u64 v[8:9], v[8:9], 0, v[10:11]
	v_mul_hi_u32 v11, v5, v12
	v_mul_lo_u32 v12, v5, v12
	v_add_co_u32_e32 v8, vcc, v8, v12
	v_mul_hi_u32 v10, v5, v13
	s_nop 0
	v_addc_co_u32_e32 v8, vcc, v9, v11, vcc
	v_mov_b32_e32 v9, v4
	s_nop 0
	v_addc_co_u32_e32 v11, vcc, 0, v10, vcc
	v_mul_lo_u32 v10, v5, v13
	v_lshl_add_u64 v[8:9], v[8:9], 0, v[10:11]
	v_add_co_u32_e32 v1, vcc, v1, v8
	v_mul_lo_u32 v10, s2, v1
	s_nop 0
	v_addc_co_u32_e32 v5, vcc, v5, v9, vcc
	v_mul_lo_u32 v8, s2, v5
	v_mul_hi_u32 v9, s2, v1
	v_add_u32_e32 v8, v9, v8
	v_mul_lo_u32 v9, s3, v1
	v_add_u32_e32 v12, v8, v9
	v_mul_hi_u32 v14, v5, v10
	v_mul_lo_u32 v15, v5, v10
	v_mul_hi_u32 v9, v1, v12
	v_mul_lo_u32 v8, v1, v12
	v_mul_hi_u32 v10, v1, v10
	v_mov_b32_e32 v11, v4
	v_lshl_add_u64 v[8:9], v[10:11], 0, v[8:9]
	v_add_co_u32_e32 v8, vcc, v8, v15
	v_mul_hi_u32 v13, v5, v12
	s_nop 0
	v_addc_co_u32_e32 v8, vcc, v9, v14, vcc
	v_mul_lo_u32 v10, v5, v12
	s_nop 0
	v_addc_co_u32_e32 v11, vcc, 0, v13, vcc
	v_mov_b32_e32 v9, v4
	v_lshl_add_u64 v[8:9], v[8:9], 0, v[10:11]
	v_add_co_u32_e32 v1, vcc, v1, v8
	v_mul_hi_u32 v10, v6, v1
	s_nop 0
	v_addc_co_u32_e32 v5, vcc, v5, v9, vcc
	v_mad_u64_u32 v[8:9], s[2:3], v6, v5, 0
	v_mov_b32_e32 v11, v4
	v_lshl_add_u64 v[8:9], v[10:11], 0, v[8:9]
	v_mad_u64_u32 v[12:13], s[2:3], v7, v1, 0
	v_add_co_u32_e32 v1, vcc, v8, v12
	v_mad_u64_u32 v[10:11], s[2:3], v7, v5, 0
	s_nop 0
	v_addc_co_u32_e32 v8, vcc, v9, v13, vcc
	v_mov_b32_e32 v9, v4
	s_nop 0
	v_addc_co_u32_e32 v11, vcc, 0, v11, vcc
	v_lshl_add_u64 v[8:9], v[8:9], 0, v[10:11]
	v_mul_lo_u32 v1, s25, v8
	v_mul_lo_u32 v5, s24, v9
	v_mad_u64_u32 v[10:11], s[2:3], s24, v8, 0
	v_add3_u32 v1, v11, v5, v1
	v_sub_u32_e32 v5, v7, v1
	v_mov_b32_e32 v11, s25
	v_sub_co_u32_e32 v14, vcc, v6, v10
	v_lshl_add_u64 v[12:13], v[8:9], 0, 1
	s_nop 0
	v_subb_co_u32_e64 v5, s[2:3], v5, v11, vcc
	v_subrev_co_u32_e64 v10, s[2:3], s24, v14
	v_subb_co_u32_e32 v1, vcc, v7, v1, vcc
	s_nop 0
	v_subbrev_co_u32_e64 v5, s[2:3], 0, v5, s[2:3]
	v_cmp_le_u32_e64 s[2:3], s25, v5
	v_cmp_le_u32_e32 vcc, s25, v1
	s_nop 0
	v_cndmask_b32_e64 v11, 0, -1, s[2:3]
	v_cmp_le_u32_e64 s[2:3], s24, v10
	s_nop 1
	v_cndmask_b32_e64 v10, 0, -1, s[2:3]
	v_cmp_eq_u32_e64 s[2:3], s25, v5
	s_nop 1
	v_cndmask_b32_e64 v5, v11, v10, s[2:3]
	v_lshl_add_u64 v[10:11], v[8:9], 0, 2
	v_cmp_ne_u32_e64 s[2:3], 0, v5
	s_nop 1
	v_cndmask_b32_e64 v5, v13, v11, s[2:3]
	v_cndmask_b32_e64 v11, 0, -1, vcc
	v_cmp_le_u32_e32 vcc, s24, v14
	s_nop 1
	v_cndmask_b32_e64 v13, 0, -1, vcc
	v_cmp_eq_u32_e32 vcc, s25, v1
	s_nop 1
	v_cndmask_b32_e32 v1, v11, v13, vcc
	v_cmp_ne_u32_e32 vcc, 0, v1
	v_cndmask_b32_e64 v1, v12, v10, s[2:3]
	s_nop 0
	v_cndmask_b32_e32 v87, v9, v5, vcc
	v_cndmask_b32_e32 v86, v8, v1, vcc
.LBB0_4:                                ;   in Loop: Header=BB0_2 Depth=1
	s_andn2_saveexec_b64 s[2:3], s[26:27]
	s_cbranch_execz .LBB0_6
; %bb.5:                                ;   in Loop: Header=BB0_2 Depth=1
	v_cvt_f32_u32_e32 v1, s24
	s_sub_i32 s26, 0, s24
	v_mov_b32_e32 v87, v4
	v_rcp_iflag_f32_e32 v1, v1
	s_nop 0
	v_mul_f32_e32 v1, 0x4f7ffffe, v1
	v_cvt_u32_f32_e32 v1, v1
	v_mul_lo_u32 v5, s26, v1
	v_mul_hi_u32 v5, v1, v5
	v_add_u32_e32 v1, v1, v5
	v_mul_hi_u32 v1, v6, v1
	v_mul_lo_u32 v5, v1, s24
	v_sub_u32_e32 v5, v6, v5
	v_add_u32_e32 v8, 1, v1
	v_subrev_u32_e32 v9, s24, v5
	v_cmp_le_u32_e32 vcc, s24, v5
	s_nop 1
	v_cndmask_b32_e32 v5, v5, v9, vcc
	v_cndmask_b32_e32 v1, v1, v8, vcc
	v_add_u32_e32 v8, 1, v1
	v_cmp_le_u32_e32 vcc, s24, v5
	s_nop 1
	v_cndmask_b32_e32 v86, v1, v8, vcc
.LBB0_6:                                ;   in Loop: Header=BB0_2 Depth=1
	s_or_b64 exec, exec, s[2:3]
	v_mad_u64_u32 v[8:9], s[2:3], v86, s24, 0
	s_load_dwordx2 s[2:3], s[18:19], 0x0
	v_mul_lo_u32 v1, v87, s24
	v_mul_lo_u32 v5, v86, s25
	s_load_dwordx2 s[24:25], s[16:17], 0x0
	s_add_u32 s22, s22, 1
	v_add3_u32 v1, v9, v5, v1
	v_sub_co_u32_e32 v5, vcc, v6, v8
	s_addc_u32 s23, s23, 0
	s_nop 0
	v_subb_co_u32_e32 v1, vcc, v7, v1, vcc
	s_add_u32 s16, s16, 8
	s_waitcnt lgkmcnt(0)
	v_mul_lo_u32 v6, s2, v1
	v_mul_lo_u32 v7, s3, v5
	v_mad_u64_u32 v[2:3], s[2:3], s2, v5, v[2:3]
	s_addc_u32 s17, s17, 0
	v_add3_u32 v3, v7, v3, v6
	v_mul_lo_u32 v1, s24, v1
	v_mul_lo_u32 v6, s25, v5
	v_mad_u64_u32 v[84:85], s[2:3], s24, v5, v[84:85]
	s_add_u32 s18, s18, 8
	v_add3_u32 v85, v6, v85, v1
	s_addc_u32 s19, s19, 0
	v_mov_b64_e32 v[6:7], s[10:11]
	s_add_u32 s20, s20, 8
	v_cmp_ge_u64_e32 vcc, s[22:23], v[6:7]
	s_addc_u32 s21, s21, 0
	s_cbranch_vccnz .LBB0_9
; %bb.7:                                ;   in Loop: Header=BB0_2 Depth=1
	v_mov_b64_e32 v[6:7], v[86:87]
	s_branch .LBB0_2
.LBB0_8:
	v_mov_b64_e32 v[84:85], v[2:3]
	v_mov_b64_e32 v[86:87], v[6:7]
.LBB0_9:
	s_load_dwordx2 s[2:3], s[0:1], 0x28
	s_lshl_b64 s[16:17], s[10:11], 3
	s_add_u32 s10, s14, s16
	s_addc_u32 s11, s15, s17
                                        ; implicit-def: $vgpr88
	s_waitcnt lgkmcnt(0)
	v_cmp_gt_u64_e64 s[0:1], s[2:3], v[86:87]
	v_cmp_le_u64_e32 vcc, s[2:3], v[86:87]
	s_and_saveexec_b64 s[2:3], vcc
	s_xor_b64 s[2:3], exec, s[2:3]
; %bb.10:
	s_mov_b32 s14, 0x2492493
	v_mul_hi_u32 v1, v0, s14
	v_mul_u32_u24_e32 v1, 0x70, v1
	v_sub_u32_e32 v88, v0, v1
                                        ; implicit-def: $vgpr0
                                        ; implicit-def: $vgpr2_vgpr3
; %bb.11:
	s_or_saveexec_b64 s[2:3], s[2:3]
	s_load_dwordx2 s[10:11], s[10:11], 0x0
	s_xor_b64 exec, exec, s[2:3]
	s_cbranch_execz .LBB0_15
; %bb.12:
	s_add_u32 s12, s12, s16
	s_addc_u32 s13, s13, s17
	s_load_dwordx2 s[12:13], s[12:13], 0x0
	s_mov_b32 s14, 0x2492493
	s_waitcnt lgkmcnt(0)
	v_mul_lo_u32 v1, s13, v86
	v_mul_lo_u32 v6, s12, v87
	v_mad_u64_u32 v[4:5], s[12:13], s12, v86, 0
	v_add3_u32 v5, v5, v6, v1
	v_mul_hi_u32 v1, v0, s14
	v_mul_u32_u24_e32 v1, 0x70, v1
	v_sub_u32_e32 v88, v0, v1
	v_lshl_add_u64 v[0:1], v[4:5], 4, s[4:5]
	v_lshl_add_u64 v[2:3], v[2:3], 4, v[0:1]
	v_lshlrev_b32_e32 v0, 4, v88
	v_mov_b32_e32 v1, 0
	v_lshl_add_u64 v[52:53], v[2:3], 0, v[0:1]
	s_movk_i32 s4, 0x1000
	v_add_co_u32_e32 v54, vcc, s4, v52
	s_movk_i32 s5, 0x2000
	s_nop 0
	v_addc_co_u32_e32 v55, vcc, 0, v53, vcc
	v_add_co_u32_e32 v56, vcc, s5, v52
	s_movk_i32 s12, 0x3000
	s_nop 0
	v_addc_co_u32_e32 v57, vcc, 0, v53, vcc
	;; [unrolled: 4-line block ×4, first 2 shown]
	v_add_co_u32_e32 v64, vcc, s14, v52
	v_add_u32_e32 v68, 0, v0
	v_or_b32_e32 v0, 0x3800, v0
	v_addc_co_u32_e32 v65, vcc, 0, v53, vcc
	v_lshl_add_u64 v[60:61], v[2:3], 0, v[0:1]
	v_add_co_u32_e32 v66, vcc, 0x6000, v52
	global_load_dwordx4 v[4:7], v[52:53], off
	global_load_dwordx4 v[8:11], v[52:53], off offset:1792
	global_load_dwordx4 v[12:15], v[52:53], off offset:3584
	;; [unrolled: 1-line block ×7, first 2 shown]
	global_load_dwordx4 v[36:39], v[60:61], off
	global_load_dwordx4 v[40:43], v[58:59], off offset:3840
	global_load_dwordx4 v[44:47], v[62:63], off offset:1536
	;; [unrolled: 1-line block ×3, first 2 shown]
	v_addc_co_u32_e32 v67, vcc, 0, v53, vcc
	global_load_dwordx4 v[52:55], v[64:65], off offset:1024
	global_load_dwordx4 v[56:59], v[64:65], off offset:2816
	;; [unrolled: 1-line block ×3, first 2 shown]
	s_movk_i32 s4, 0x6f
	v_cmp_eq_u32_e32 vcc, s4, v88
	s_waitcnt vmcnt(14)
	ds_write_b128 v68, v[4:7]
	s_waitcnt vmcnt(13)
	ds_write_b128 v68, v[8:11] offset:1792
	s_waitcnt vmcnt(12)
	ds_write_b128 v68, v[12:15] offset:3584
	;; [unrolled: 2-line block ×14, first 2 shown]
	s_and_saveexec_b64 s[4:5], vcc
	s_cbranch_execz .LBB0_14
; %bb.13:
	v_add_co_u32_e32 v2, vcc, 0x6000, v2
	v_mov_b32_e32 v88, 0x6f
	s_nop 0
	v_addc_co_u32_e32 v3, vcc, 0, v3, vcc
	global_load_dwordx4 v[2:5], v[2:3], off offset:2304
	s_waitcnt vmcnt(0)
	ds_write_b128 v1, v[2:5] offset:26880
.LBB0_14:
	s_or_b64 exec, exec, s[4:5]
.LBB0_15:
	s_or_b64 exec, exec, s[2:3]
	v_lshlrev_b32_e32 v0, 4, v88
	v_add_u32_e32 v92, 0, v0
	s_waitcnt lgkmcnt(0)
	s_barrier
	v_sub_u32_e32 v14, 0, v0
	ds_read_b64 v[6:7], v92
	ds_read_b64 v[8:9], v14 offset:26880
	s_add_u32 s2, s8, 0x68e0
	s_addc_u32 s3, s9, 0
	v_cmp_ne_u32_e32 vcc, 0, v88
                                        ; implicit-def: $vgpr4_vgpr5
	s_waitcnt lgkmcnt(0)
	v_add_f64 v[0:1], v[6:7], v[8:9]
	v_add_f64 v[2:3], v[6:7], -v[8:9]
	s_and_saveexec_b64 s[4:5], vcc
	s_xor_b64 s[4:5], exec, s[4:5]
	s_cbranch_execz .LBB0_17
; %bb.16:
	v_mov_b32_e32 v89, 0
	v_lshl_add_u64 v[0:1], v[88:89], 4, s[2:3]
	global_load_dwordx4 v[10:13], v[0:1], off
	ds_read_b64 v[0:1], v14 offset:26888
	ds_read_b64 v[2:3], v92 offset:8
	v_add_f64 v[4:5], v[6:7], v[8:9]
	v_add_f64 v[8:9], v[6:7], -v[8:9]
	s_waitcnt lgkmcnt(0)
	v_add_f64 v[16:17], v[0:1], v[2:3]
	v_add_f64 v[0:1], v[2:3], -v[0:1]
	s_waitcnt vmcnt(0)
	v_fma_f64 v[18:19], v[8:9], v[12:13], v[4:5]
	v_fma_f64 v[4:5], -v[8:9], v[12:13], v[4:5]
	v_fma_f64 v[6:7], v[16:17], v[12:13], -v[0:1]
	v_fma_f64 v[2:3], v[16:17], v[12:13], v[0:1]
	v_fmac_f64_e32 v[4:5], v[16:17], v[10:11]
	v_fmac_f64_e32 v[6:7], v[8:9], v[10:11]
	v_fma_f64 v[0:1], -v[16:17], v[10:11], v[18:19]
	v_fmac_f64_e32 v[2:3], v[8:9], v[10:11]
	ds_write_b128 v14, v[4:7] offset:26880
	v_mov_b64_e32 v[4:5], v[88:89]
.LBB0_17:
	s_andn2_saveexec_b64 s[4:5], s[4:5]
	s_cbranch_execz .LBB0_19
; %bb.18:
	v_mov_b32_e32 v8, 0
	ds_read_b128 v[4:7], v8 offset:13440
	s_waitcnt lgkmcnt(0)
	v_add_f64 v[4:5], v[4:5], v[4:5]
	v_mul_f64 v[6:7], v[6:7], -2.0
	ds_write_b128 v8, v[4:7] offset:13440
	v_mov_b64_e32 v[4:5], 0
.LBB0_19:
	s_or_b64 exec, exec, s[4:5]
	v_lshl_add_u64 v[12:13], v[4:5], 4, s[2:3]
	global_load_dwordx4 v[8:11], v[12:13], off offset:1792
	global_load_dwordx4 v[4:7], v[12:13], off offset:3584
	s_movk_i32 s2, 0x1000
	v_add_co_u32_e32 v24, vcc, s2, v12
	s_movk_i32 s2, 0x2000
	s_nop 0
	v_addc_co_u32_e32 v25, vcc, 0, v13, vcc
	global_load_dwordx4 v[16:19], v[24:25], off offset:1280
	global_load_dwordx4 v[20:23], v[24:25], off offset:3072
	v_add_co_u32_e32 v32, vcc, s2, v12
	ds_write_b128 v92, v[0:3]
	s_nop 0
	v_addc_co_u32_e32 v33, vcc, 0, v13, vcc
	ds_read_b128 v[0:3], v92 offset:1792
	ds_read_b128 v[24:27], v14 offset:25088
	global_load_dwordx4 v[28:31], v[32:33], off offset:768
	v_cmp_gt_u32_e32 vcc, 56, v88
	s_waitcnt lgkmcnt(0)
	v_add_f64 v[34:35], v[0:1], v[24:25]
	v_add_f64 v[36:37], v[26:27], v[2:3]
	v_add_f64 v[38:39], v[0:1], -v[24:25]
	v_add_f64 v[0:1], v[2:3], -v[26:27]
	s_waitcnt vmcnt(4)
	v_fma_f64 v[40:41], v[38:39], v[10:11], v[34:35]
	v_fma_f64 v[2:3], v[36:37], v[10:11], v[0:1]
	v_fma_f64 v[24:25], -v[38:39], v[10:11], v[34:35]
	v_fma_f64 v[26:27], v[36:37], v[10:11], -v[0:1]
	v_fma_f64 v[0:1], -v[36:37], v[8:9], v[40:41]
	v_fmac_f64_e32 v[2:3], v[38:39], v[8:9]
	v_fmac_f64_e32 v[24:25], v[36:37], v[8:9]
	;; [unrolled: 1-line block ×3, first 2 shown]
	ds_write_b128 v92, v[0:3] offset:1792
	ds_write_b128 v14, v[24:27] offset:25088
	ds_read_b128 v[0:3], v92 offset:3584
	ds_read_b128 v[8:11], v14 offset:23296
	global_load_dwordx4 v[24:27], v[32:33], off offset:2560
	s_waitcnt lgkmcnt(0)
	v_add_f64 v[32:33], v[0:1], v[8:9]
	v_add_f64 v[34:35], v[10:11], v[2:3]
	v_add_f64 v[36:37], v[0:1], -v[8:9]
	v_add_f64 v[0:1], v[2:3], -v[10:11]
	s_waitcnt vmcnt(4)
	v_fma_f64 v[38:39], v[36:37], v[6:7], v[32:33]
	v_fma_f64 v[2:3], v[34:35], v[6:7], v[0:1]
	v_fma_f64 v[8:9], -v[36:37], v[6:7], v[32:33]
	v_fma_f64 v[10:11], v[34:35], v[6:7], -v[0:1]
	v_fma_f64 v[0:1], -v[34:35], v[4:5], v[38:39]
	v_fmac_f64_e32 v[2:3], v[36:37], v[4:5]
	v_fmac_f64_e32 v[8:9], v[34:35], v[4:5]
	v_fmac_f64_e32 v[10:11], v[36:37], v[4:5]
	ds_write_b128 v92, v[0:3] offset:3584
	ds_write_b128 v14, v[8:11] offset:23296
	ds_read_b128 v[0:3], v92 offset:5376
	ds_read_b128 v[4:7], v14 offset:21504
	s_waitcnt lgkmcnt(0)
	v_add_f64 v[8:9], v[0:1], v[4:5]
	v_add_f64 v[10:11], v[6:7], v[2:3]
	v_add_f64 v[32:33], v[0:1], -v[4:5]
	v_add_f64 v[0:1], v[2:3], -v[6:7]
	s_waitcnt vmcnt(3)
	v_fma_f64 v[34:35], v[32:33], v[18:19], v[8:9]
	v_fma_f64 v[2:3], v[10:11], v[18:19], v[0:1]
	v_fma_f64 v[4:5], -v[32:33], v[18:19], v[8:9]
	v_fma_f64 v[6:7], v[10:11], v[18:19], -v[0:1]
	v_fma_f64 v[0:1], -v[10:11], v[16:17], v[34:35]
	v_fmac_f64_e32 v[2:3], v[32:33], v[16:17]
	v_fmac_f64_e32 v[4:5], v[10:11], v[16:17]
	v_fmac_f64_e32 v[6:7], v[32:33], v[16:17]
	ds_write_b128 v92, v[0:3] offset:5376
	ds_write_b128 v14, v[4:7] offset:21504
	ds_read_b128 v[0:3], v92 offset:7168
	ds_read_b128 v[4:7], v14 offset:19712
	;; [unrolled: 18-line block ×4, first 2 shown]
	s_waitcnt lgkmcnt(0)
	v_add_f64 v[8:9], v[0:1], v[4:5]
	v_add_f64 v[10:11], v[6:7], v[2:3]
	v_add_f64 v[16:17], v[0:1], -v[4:5]
	v_add_f64 v[0:1], v[2:3], -v[6:7]
	s_waitcnt vmcnt(0)
	v_fma_f64 v[18:19], v[16:17], v[26:27], v[8:9]
	v_fma_f64 v[2:3], v[10:11], v[26:27], v[0:1]
	v_fma_f64 v[4:5], -v[16:17], v[26:27], v[8:9]
	v_fma_f64 v[6:7], v[10:11], v[26:27], -v[0:1]
	v_fma_f64 v[0:1], -v[10:11], v[24:25], v[18:19]
	v_fmac_f64_e32 v[2:3], v[16:17], v[24:25]
	v_fmac_f64_e32 v[4:5], v[10:11], v[24:25]
	;; [unrolled: 1-line block ×3, first 2 shown]
	ds_write_b128 v92, v[0:3] offset:10752
	ds_write_b128 v14, v[4:7] offset:16128
	s_and_saveexec_b64 s[4:5], vcc
	s_cbranch_execz .LBB0_21
; %bb.20:
	s_movk_i32 s2, 0x3000
	v_add_co_u32_e64 v0, s[2:3], s2, v12
	s_nop 1
	v_addc_co_u32_e64 v1, s[2:3], 0, v13, s[2:3]
	global_load_dwordx4 v[0:3], v[0:1], off offset:256
	ds_read_b128 v[4:7], v92 offset:12544
	ds_read_b128 v[8:11], v14 offset:14336
	s_waitcnt lgkmcnt(0)
	v_add_f64 v[12:13], v[4:5], v[8:9]
	v_add_f64 v[16:17], v[10:11], v[6:7]
	v_add_f64 v[18:19], v[4:5], -v[8:9]
	v_add_f64 v[8:9], v[6:7], -v[10:11]
	s_waitcnt vmcnt(0)
	v_fma_f64 v[10:11], v[18:19], v[2:3], v[12:13]
	v_fma_f64 v[4:5], v[16:17], v[2:3], v[8:9]
	v_fma_f64 v[6:7], -v[18:19], v[2:3], v[12:13]
	v_fma_f64 v[8:9], v[16:17], v[2:3], -v[8:9]
	v_fma_f64 v[2:3], -v[16:17], v[0:1], v[10:11]
	v_fmac_f64_e32 v[4:5], v[18:19], v[0:1]
	v_fmac_f64_e32 v[6:7], v[16:17], v[0:1]
	;; [unrolled: 1-line block ×3, first 2 shown]
	ds_write_b128 v92, v[2:5] offset:12544
	ds_write_b128 v14, v[6:9] offset:14336
.LBB0_21:
	s_or_b64 exec, exec, s[4:5]
	s_waitcnt lgkmcnt(0)
	s_barrier
	s_barrier
	ds_read_b128 v[0:3], v92
	ds_read_b128 v[4:7], v92 offset:1792
	ds_read_b128 v[8:11], v92 offset:13440
	;; [unrolled: 1-line block ×11, first 2 shown]
	s_waitcnt lgkmcnt(9)
	v_add_f64 v[8:9], v[0:1], -v[8:9]
	v_add_f64 v[10:11], v[2:3], -v[10:11]
	ds_read_b128 v[48:51], v92 offset:10752
	ds_read_b128 v[52:55], v92 offset:12544
	;; [unrolled: 1-line block ×4, first 2 shown]
	v_fma_f64 v[0:1], v[0:1], 2.0, -v[8:9]
	v_fma_f64 v[2:3], v[2:3], 2.0, -v[10:11]
	v_lshl_add_u32 v64, v88, 4, v92
	s_waitcnt lgkmcnt(0)
	s_barrier
	ds_write_b128 v64, v[0:3]
	ds_write_b128 v64, v[8:11] offset:16
	v_add_f64 v[0:1], v[4:5], -v[12:13]
	v_add_f64 v[2:3], v[6:7], -v[14:15]
	v_add_u32_e32 v93, 0x70, v88
	v_fma_f64 v[4:5], v[4:5], 2.0, -v[0:1]
	v_fma_f64 v[6:7], v[6:7], 2.0, -v[2:3]
	v_lshl_add_u32 v8, v93, 5, 0
	ds_write_b128 v8, v[4:7]
	v_add_u32_e32 v89, 0xe0, v88
	ds_write_b128 v8, v[0:3] offset:16
	v_add_f64 v[8:9], v[16:17], -v[24:25]
	v_add_f64 v[10:11], v[18:19], -v[26:27]
	;; [unrolled: 1-line block ×4, first 2 shown]
	v_add_u32_e32 v69, 0x150, v88
	v_fma_f64 v[12:13], v[16:17], 2.0, -v[8:9]
	v_fma_f64 v[14:15], v[18:19], 2.0, -v[10:11]
	v_add_f64 v[16:17], v[20:21], -v[28:29]
	v_add_f64 v[18:19], v[22:23], -v[30:31]
	v_fma_f64 v[28:29], v[32:33], 2.0, -v[24:25]
	v_add_f64 v[32:33], v[36:37], -v[44:45]
	v_fma_f64 v[44:45], v[48:49], 2.0, -v[40:41]
	v_lshl_add_u32 v48, v89, 5, 0
	v_add_u32_e32 v68, 0x1c0, v88
	v_fma_f64 v[20:21], v[20:21], 2.0, -v[16:17]
	v_fma_f64 v[22:23], v[22:23], 2.0, -v[18:19]
	v_add_f64 v[26:27], v[34:35], -v[42:43]
	ds_write_b128 v48, v[12:15]
	ds_write_b128 v48, v[8:11] offset:16
	v_lshl_add_u32 v8, v69, 5, 0
	v_add_u32_e32 v64, 0x230, v88
	v_fma_f64 v[30:31], v[34:35], 2.0, -v[26:27]
	v_add_f64 v[34:35], v[38:39], -v[46:47]
	ds_write_b128 v8, v[20:23]
	ds_write_b128 v8, v[16:19] offset:16
	v_lshl_add_u32 v8, v68, 5, 0
	v_fma_f64 v[36:37], v[36:37], 2.0, -v[32:33]
	v_fma_f64 v[38:39], v[38:39], 2.0, -v[34:35]
	v_add_f64 v[42:43], v[50:51], -v[58:59]
	v_add_f64 v[4:5], v[52:53], -v[60:61]
	;; [unrolled: 1-line block ×3, first 2 shown]
	v_add_u32_e32 v65, 0x2a0, v88
	ds_write_b128 v8, v[28:31]
	ds_write_b128 v8, v[24:27] offset:16
	v_lshl_add_u32 v8, v64, 5, 0
	v_fma_f64 v[46:47], v[50:51], 2.0, -v[42:43]
	v_fma_f64 v[0:1], v[52:53], 2.0, -v[4:5]
	;; [unrolled: 1-line block ×3, first 2 shown]
	v_add_u32_e32 v77, 0x310, v88
	ds_write_b128 v8, v[36:39]
	ds_write_b128 v8, v[32:35] offset:16
	v_lshl_add_u32 v8, v65, 5, 0
	ds_write_b128 v8, v[44:47]
	ds_write_b128 v8, v[40:43] offset:16
	s_and_saveexec_b64 s[2:3], vcc
	s_cbranch_execz .LBB0_23
; %bb.22:
	v_lshl_add_u32 v8, v77, 5, 0
	ds_write_b128 v8, v[0:3]
	ds_write_b128 v8, v[4:7] offset:16
.LBB0_23:
	s_or_b64 exec, exec, s[2:3]
	s_waitcnt lgkmcnt(0)
	s_barrier
	ds_read_b128 v[8:11], v92
	ds_read_b128 v[12:15], v92 offset:1792
	ds_read_b128 v[36:39], v92 offset:15232
	;; [unrolled: 1-line block ×13, first 2 shown]
	v_lshlrev_b32_e32 v73, 1, v93
	v_lshlrev_b32_e32 v74, 1, v89
	;; [unrolled: 1-line block ×6, first 2 shown]
	s_and_saveexec_b64 s[2:3], vcc
	s_cbranch_execz .LBB0_25
; %bb.24:
	ds_read_b128 v[0:3], v92 offset:12544
	ds_read_b128 v[4:7], v92 offset:25984
.LBB0_25:
	s_or_b64 exec, exec, s[2:3]
	v_and_b32_e32 v78, 1, v88
	v_lshlrev_b32_e32 v64, 4, v78
	global_load_dwordx4 v[64:67], v64, s[8:9]
	s_movk_i32 s3, 0x1fc
	s_movk_i32 s4, 0x3fc
	v_and_or_b32 v80, v73, s3, v78
	v_and_or_b32 v81, v74, s4, v78
	v_lshl_add_u32 v119, v80, 4, 0
	v_lshl_add_u32 v120, v81, 4, 0
	v_lshlrev_b32_e32 v76, 1, v88
	s_movk_i32 s2, 0xfc
	v_and_or_b32 v79, v76, s2, v78
	v_and_or_b32 v118, v75, s4, v78
	v_lshl_add_u32 v79, v79, 4, 0
	s_waitcnt lgkmcnt(0)
	s_barrier
	s_movk_i32 s2, 0x7fc
	s_movk_i32 s3, 0x5fc
	v_lshlrev_b32_e32 v77, 1, v77
	s_waitcnt vmcnt(0)
	v_mul_f64 v[80:81], v[62:63], v[66:67]
	v_mul_f64 v[82:83], v[60:61], v[66:67]
	;; [unrolled: 1-line block ×8, first 2 shown]
	v_fmac_f64_e32 v[80:81], v[60:61], v[64:65]
	v_mul_f64 v[104:105], v[50:51], v[66:67]
	v_mul_f64 v[106:107], v[48:49], v[66:67]
	v_fma_f64 v[60:61], v[62:63], v[64:65], -v[82:83]
	v_fmac_f64_e32 v[90:91], v[36:37], v[64:65]
	v_fma_f64 v[62:63], v[38:39], v[64:65], -v[94:95]
	v_fmac_f64_e32 v[96:97], v[40:41], v[64:65]
	;; [unrolled: 2-line block ×3, first 2 shown]
	v_fma_f64 v[94:95], v[46:47], v[64:65], -v[102:103]
	v_add_f64 v[36:37], v[8:9], -v[80:81]
	v_fmac_f64_e32 v[104:105], v[48:49], v[64:65]
	v_fma_f64 v[98:99], v[50:51], v[64:65], -v[106:107]
	v_add_f64 v[38:39], v[10:11], -v[60:61]
	v_add_f64 v[40:41], v[12:13], -v[90:91]
	;; [unrolled: 1-line block ×7, first 2 shown]
	v_fma_f64 v[8:9], v[8:9], 2.0, -v[36:37]
	v_mul_f64 v[112:113], v[54:55], v[66:67]
	v_mul_f64 v[114:115], v[52:53], v[66:67]
	v_fma_f64 v[10:11], v[10:11], 2.0, -v[38:39]
	v_fma_f64 v[12:13], v[12:13], 2.0, -v[40:41]
	;; [unrolled: 1-line block ×7, first 2 shown]
	ds_write_b128 v79, v[36:39] offset:32
	ds_write_b128 v79, v[8:11]
	ds_write_b128 v119, v[12:15]
	ds_write_b128 v119, v[40:43] offset:32
	ds_write_b128 v120, v[20:23]
	ds_write_b128 v120, v[44:47] offset:32
	v_lshl_add_u32 v8, v118, 4, 0
	v_mul_f64 v[108:109], v[58:59], v[66:67]
	v_mul_f64 v[110:111], v[56:57], v[66:67]
	v_fmac_f64_e32 v[112:113], v[52:53], v[64:65]
	v_fma_f64 v[102:103], v[54:55], v[64:65], -v[114:115]
	v_add_f64 v[52:53], v[28:29], -v[104:105]
	v_add_f64 v[54:55], v[30:31], -v[98:99]
	ds_write_b128 v8, v[16:19]
	ds_write_b128 v8, v[48:51] offset:32
	v_and_or_b32 v8, v72, s2, v78
	v_fmac_f64_e32 v[108:109], v[56:57], v[64:65]
	v_fma_f64 v[58:59], v[58:59], v[64:65], -v[110:111]
	v_fma_f64 v[28:29], v[28:29], 2.0, -v[52:53]
	v_fma_f64 v[30:31], v[30:31], 2.0, -v[54:55]
	v_lshl_add_u32 v8, v8, 4, 0
	v_mul_f64 v[116:117], v[6:7], v[66:67]
	v_mul_f64 v[66:67], v[4:5], v[66:67]
	v_add_f64 v[56:57], v[24:25], -v[108:109]
	v_add_f64 v[58:59], v[26:27], -v[58:59]
	ds_write_b128 v8, v[28:31]
	ds_write_b128 v8, v[52:55] offset:32
	v_and_or_b32 v8, v71, s3, v78
	v_fmac_f64_e32 v[116:117], v[4:5], v[64:65]
	v_fma_f64 v[6:7], v[6:7], v[64:65], -v[66:67]
	v_fma_f64 v[24:25], v[24:25], 2.0, -v[56:57]
	v_fma_f64 v[26:27], v[26:27], 2.0, -v[58:59]
	v_lshl_add_u32 v8, v8, 4, 0
	v_add_f64 v[60:61], v[32:33], -v[112:113]
	v_add_f64 v[62:63], v[34:35], -v[102:103]
	;; [unrolled: 1-line block ×4, first 2 shown]
	ds_write_b128 v8, v[24:27]
	ds_write_b128 v8, v[56:59] offset:32
	v_and_or_b32 v8, v70, s2, v78
	v_fma_f64 v[32:33], v[32:33], 2.0, -v[60:61]
	v_fma_f64 v[34:35], v[34:35], 2.0, -v[62:63]
	;; [unrolled: 1-line block ×4, first 2 shown]
	v_lshl_add_u32 v8, v8, 4, 0
	ds_write_b128 v8, v[32:35]
	ds_write_b128 v8, v[60:63] offset:32
	s_and_saveexec_b64 s[2:3], vcc
	s_cbranch_execz .LBB0_27
; %bb.26:
	s_movk_i32 s4, 0x6fc
	v_and_or_b32 v8, v77, s4, v78
	v_lshl_add_u32 v8, v8, 4, 0
	ds_write_b128 v8, v[0:3]
	ds_write_b128 v8, v[4:7] offset:32
.LBB0_27:
	s_or_b64 exec, exec, s[2:3]
	s_waitcnt lgkmcnt(0)
	s_barrier
	ds_read_b128 v[12:15], v92
	ds_read_b128 v[16:19], v92 offset:1792
	ds_read_b128 v[8:11], v92 offset:15232
	;; [unrolled: 1-line block ×13, first 2 shown]
	s_and_saveexec_b64 s[2:3], vcc
	s_cbranch_execz .LBB0_29
; %bb.28:
	ds_read_b128 v[0:3], v92 offset:12544
	ds_read_b128 v[4:7], v92 offset:25984
.LBB0_29:
	s_or_b64 exec, exec, s[2:3]
	v_and_b32_e32 v78, 3, v88
	v_lshlrev_b32_e32 v64, 4, v78
	global_load_dwordx4 v[64:67], v64, s[8:9] offset:32
	s_movk_i32 s3, 0x1f8
	s_movk_i32 s4, 0x3f8
	v_and_or_b32 v80, v73, s3, v78
	v_and_or_b32 v81, v74, s4, v78
	;; [unrolled: 1-line block ×3, first 2 shown]
	s_movk_i32 s2, 0xf8
	v_lshl_add_u32 v118, v80, 4, 0
	v_lshl_add_u32 v119, v81, 4, 0
	;; [unrolled: 1-line block ×3, first 2 shown]
	v_and_or_b32 v79, v76, s2, v78
	s_movk_i32 s2, 0x7f8
	v_lshl_add_u32 v79, v79, 4, 0
	s_movk_i32 s3, 0x5f8
	s_waitcnt lgkmcnt(0)
	s_barrier
	s_waitcnt vmcnt(0)
	v_mul_f64 v[90:91], v[10:11], v[66:67]
	v_mul_f64 v[94:95], v[8:9], v[66:67]
	;; [unrolled: 1-line block ×16, first 2 shown]
	v_fmac_f64_e32 v[90:91], v[8:9], v[64:65]
	v_fma_f64 v[8:9], v[10:11], v[64:65], -v[94:95]
	v_fmac_f64_e32 v[116:117], v[4:5], v[64:65]
	v_fmac_f64_e32 v[80:81], v[60:61], v[64:65]
	v_fma_f64 v[60:61], v[62:63], v[64:65], -v[82:83]
	v_fma_f64 v[10:11], v[42:43], v[64:65], -v[98:99]
	v_fma_f64 v[62:63], v[46:47], v[64:65], -v[102:103]
	v_fmac_f64_e32 v[104:105], v[48:49], v[64:65]
	v_fma_f64 v[82:83], v[50:51], v[64:65], -v[106:107]
	v_fma_f64 v[4:5], v[6:7], v[64:65], -v[66:67]
	v_add_f64 v[46:47], v[18:19], -v[8:9]
	v_add_f64 v[8:9], v[0:1], -v[116:117]
	v_fmac_f64_e32 v[96:97], v[40:41], v[64:65]
	v_fmac_f64_e32 v[100:101], v[44:45], v[64:65]
	;; [unrolled: 1-line block ×3, first 2 shown]
	v_fma_f64 v[94:95], v[58:59], v[64:65], -v[110:111]
	v_add_f64 v[50:51], v[26:27], -v[10:11]
	v_add_f64 v[56:57], v[32:33], -v[104:105]
	;; [unrolled: 1-line block ×4, first 2 shown]
	v_fma_f64 v[4:5], v[0:1], 2.0, -v[8:9]
	v_and_or_b32 v0, v72, s2, v78
	v_fmac_f64_e32 v[112:113], v[52:53], v[64:65]
	v_fma_f64 v[98:99], v[54:55], v[64:65], -v[114:115]
	v_add_f64 v[40:41], v[12:13], -v[80:81]
	v_add_f64 v[42:43], v[14:15], -v[60:61]
	;; [unrolled: 1-line block ×6, first 2 shown]
	v_fma_f64 v[32:33], v[32:33], 2.0, -v[56:57]
	v_fma_f64 v[34:35], v[34:35], 2.0, -v[58:59]
	v_lshl_add_u32 v0, v0, 4, 0
	v_add_f64 v[60:61], v[28:29], -v[108:109]
	v_add_f64 v[62:63], v[30:31], -v[94:95]
	v_fma_f64 v[12:13], v[12:13], 2.0, -v[40:41]
	v_fma_f64 v[14:15], v[14:15], 2.0, -v[42:43]
	;; [unrolled: 1-line block ×8, first 2 shown]
	ds_write_b128 v79, v[40:43] offset:64
	ds_write_b128 v79, v[12:15]
	ds_write_b128 v118, v[16:19]
	ds_write_b128 v118, v[44:47] offset:64
	ds_write_b128 v119, v[24:27]
	ds_write_b128 v119, v[48:51] offset:64
	;; [unrolled: 2-line block ×4, first 2 shown]
	v_and_or_b32 v0, v71, s3, v78
	v_fma_f64 v[28:29], v[28:29], 2.0, -v[60:61]
	v_fma_f64 v[30:31], v[30:31], 2.0, -v[62:63]
	v_lshl_add_u32 v0, v0, 4, 0
	v_add_f64 v[64:65], v[36:37], -v[112:113]
	v_add_f64 v[66:67], v[38:39], -v[98:99]
	ds_write_b128 v0, v[28:31]
	ds_write_b128 v0, v[60:63] offset:64
	v_and_or_b32 v0, v70, s2, v78
	v_fma_f64 v[36:37], v[36:37], 2.0, -v[64:65]
	v_fma_f64 v[38:39], v[38:39], 2.0, -v[66:67]
	;; [unrolled: 1-line block ×3, first 2 shown]
	v_lshl_add_u32 v0, v0, 4, 0
	ds_write_b128 v0, v[36:39]
	ds_write_b128 v0, v[64:67] offset:64
	s_and_saveexec_b64 s[2:3], vcc
	s_cbranch_execz .LBB0_31
; %bb.30:
	s_movk_i32 s4, 0x6f8
	v_and_or_b32 v0, v77, s4, v78
	v_lshl_add_u32 v0, v0, 4, 0
	ds_write_b128 v0, v[4:7]
	ds_write_b128 v0, v[8:11] offset:64
.LBB0_31:
	s_or_b64 exec, exec, s[2:3]
	s_waitcnt lgkmcnt(0)
	s_barrier
	ds_read_b128 v[12:15], v92
	ds_read_b128 v[16:19], v92 offset:1792
	ds_read_b128 v[0:3], v92 offset:15232
	;; [unrolled: 1-line block ×13, first 2 shown]
	s_and_saveexec_b64 s[2:3], vcc
	s_cbranch_execz .LBB0_33
; %bb.32:
	ds_read_b128 v[4:7], v92 offset:12544
	ds_read_b128 v[8:11], v92 offset:25984
.LBB0_33:
	s_or_b64 exec, exec, s[2:3]
	v_and_b32_e32 v64, 7, v88
	v_lshlrev_b32_e32 v65, 4, v64
	global_load_dwordx4 v[78:81], v65, s[8:9] offset:96
	s_movk_i32 s3, 0x1f0
	s_movk_i32 s4, 0x3f0
	s_movk_i32 s2, 0xf0
	v_and_or_b32 v66, v73, s3, v64
	v_and_or_b32 v67, v74, s4, v64
	;; [unrolled: 1-line block ×4, first 2 shown]
	v_lshl_add_u32 v76, v66, 4, 0
	v_lshl_add_u32 v116, v67, 4, 0
	;; [unrolled: 1-line block ×3, first 2 shown]
	s_movk_i32 s2, 0x7f0
	s_waitcnt lgkmcnt(0)
	s_barrier
	v_lshl_add_u32 v73, v73, 4, 0
	s_movk_i32 s3, 0x5f0
	s_waitcnt vmcnt(0)
	v_mul_f64 v[66:67], v[62:63], v[80:81]
	v_mul_f64 v[74:75], v[60:61], v[80:81]
	;; [unrolled: 1-line block ×16, first 2 shown]
	v_fmac_f64_e32 v[66:67], v[60:61], v[78:79]
	v_fma_f64 v[60:61], v[62:63], v[78:79], -v[74:75]
	v_fmac_f64_e32 v[82:83], v[0:1], v[78:79]
	v_fma_f64 v[0:1], v[2:3], v[78:79], -v[90:91]
	;; [unrolled: 2-line block ×8, first 2 shown]
	v_add_f64 v[8:9], v[12:13], -v[66:67]
	v_add_f64 v[10:11], v[14:15], -v[60:61]
	;; [unrolled: 1-line block ×10, first 2 shown]
	v_fma_f64 v[12:13], v[12:13], 2.0, -v[8:9]
	v_fma_f64 v[14:15], v[14:15], 2.0, -v[10:11]
	;; [unrolled: 1-line block ×8, first 2 shown]
	ds_write_b128 v65, v[8:11] offset:128
	ds_write_b128 v65, v[12:15]
	ds_write_b128 v76, v[16:19]
	ds_write_b128 v76, v[40:43] offset:128
	ds_write_b128 v116, v[24:27]
	ds_write_b128 v116, v[44:47] offset:128
	ds_write_b128 v73, v[20:23]
	ds_write_b128 v73, v[48:51] offset:128
	v_and_or_b32 v8, v72, s2, v64
	v_fma_f64 v[32:33], v[32:33], 2.0, -v[52:53]
	v_fma_f64 v[34:35], v[34:35], 2.0, -v[54:55]
	v_lshl_add_u32 v8, v8, 4, 0
	v_add_f64 v[56:57], v[28:29], -v[106:107]
	v_add_f64 v[58:59], v[30:31], -v[58:59]
	ds_write_b128 v8, v[32:35]
	ds_write_b128 v8, v[52:55] offset:128
	v_and_or_b32 v8, v71, s3, v64
	v_fma_f64 v[28:29], v[28:29], 2.0, -v[56:57]
	v_fma_f64 v[30:31], v[30:31], 2.0, -v[58:59]
	v_lshl_add_u32 v8, v8, 4, 0
	v_add_f64 v[60:61], v[36:37], -v[110:111]
	v_add_f64 v[62:63], v[38:39], -v[90:91]
	ds_write_b128 v8, v[28:31]
	ds_write_b128 v8, v[56:59] offset:128
	v_and_or_b32 v8, v70, s2, v64
	v_add_f64 v[0:1], v[4:5], -v[114:115]
	v_add_f64 v[2:3], v[6:7], -v[78:79]
	v_fma_f64 v[36:37], v[36:37], 2.0, -v[60:61]
	v_fma_f64 v[38:39], v[38:39], 2.0, -v[62:63]
	v_lshl_add_u32 v8, v8, 4, 0
	ds_write_b128 v8, v[36:39]
	ds_write_b128 v8, v[60:63] offset:128
	s_and_saveexec_b64 s[2:3], vcc
	s_cbranch_execz .LBB0_35
; %bb.34:
	s_movk_i32 s4, 0x6f0
	v_and_or_b32 v8, v77, s4, v64
	v_lshl_add_u32 v8, v8, 4, 0
	v_fma_f64 v[6:7], v[6:7], 2.0, -v[2:3]
	v_fma_f64 v[4:5], v[4:5], 2.0, -v[0:1]
	ds_write_b128 v8, v[4:7]
	ds_write_b128 v8, v[0:3] offset:128
.LBB0_35:
	s_or_b64 exec, exec, s[2:3]
	v_and_b32_e32 v118, 15, v88
	v_lshlrev_b32_e32 v4, 5, v118
	s_waitcnt lgkmcnt(0)
	s_barrier
	global_load_dwordx4 v[24:27], v4, s[8:9] offset:224
	global_load_dwordx4 v[28:31], v4, s[8:9] offset:240
	ds_read_b128 v[20:23], v92
	ds_read_b128 v[16:19], v92 offset:1792
	ds_read_b128 v[32:35], v92 offset:17920
	ds_read_b128 v[36:39], v92 offset:19712
	ds_read_b128 v[40:43], v92 offset:10752
	ds_read_b128 v[44:47], v92 offset:12544
	ds_read_b128 v[12:15], v92 offset:3584
	ds_read_b128 v[8:11], v92 offset:5376
	ds_read_b128 v[48:51], v92 offset:21504
	ds_read_b128 v[52:55], v92 offset:23296
	ds_read_b128 v[56:59], v92 offset:8960
	ds_read_b128 v[4:7], v92 offset:7168
	ds_read_b128 v[60:63], v92 offset:14336
	ds_read_b128 v[64:67], v92 offset:16128
	ds_read_b128 v[70:73], v92 offset:25088
	s_mov_b32 s2, 0xe8584caa
	s_mov_b32 s3, 0xbfebb67a
	;; [unrolled: 1-line block ×4, first 2 shown]
	s_waitcnt lgkmcnt(0)
	s_barrier
	v_cmp_gt_u32_e32 vcc, 16, v88
	s_waitcnt vmcnt(1)
	v_mul_f64 v[74:75], v[58:59], v[26:27]
	s_waitcnt vmcnt(0)
	v_mul_f64 v[78:79], v[34:35], v[30:31]
	v_mul_f64 v[76:77], v[56:57], v[26:27]
	;; [unrolled: 1-line block ×11, first 2 shown]
	v_fmac_f64_e32 v[74:75], v[56:57], v[24:25]
	v_fmac_f64_e32 v[78:79], v[32:33], v[28:29]
	v_mul_f64 v[94:95], v[38:39], v[30:31]
	v_mul_f64 v[96:97], v[36:37], v[30:31]
	v_mul_f64 v[102:103], v[50:51], v[30:31]
	v_mul_f64 v[104:105], v[48:49], v[30:31]
	v_mul_f64 v[110:111], v[54:55], v[30:31]
	v_mul_f64 v[112:113], v[52:53], v[30:31]
	v_mul_f64 v[116:117], v[72:73], v[30:31]
	v_mul_f64 v[30:31], v[70:71], v[30:31]
	v_fma_f64 v[56:57], v[58:59], v[24:25], -v[76:77]
	v_fma_f64 v[32:33], v[34:35], v[28:29], -v[80:81]
	v_fma_f64 v[58:59], v[62:63], v[24:25], -v[108:109]
	v_fma_f64 v[62:63], v[66:67], v[24:25], -v[26:27]
	v_add_f64 v[26:27], v[74:75], v[78:79]
	v_fmac_f64_e32 v[82:83], v[40:41], v[24:25]
	v_fma_f64 v[40:41], v[42:43], v[24:25], -v[90:91]
	v_fmac_f64_e32 v[94:95], v[36:37], v[28:29]
	v_fma_f64 v[38:39], v[38:39], v[28:29], -v[96:97]
	;; [unrolled: 2-line block ×4, first 2 shown]
	v_fmac_f64_e32 v[106:107], v[60:61], v[24:25]
	v_fmac_f64_e32 v[110:111], v[52:53], v[28:29]
	v_fma_f64 v[54:55], v[54:55], v[28:29], -v[112:113]
	v_fmac_f64_e32 v[114:115], v[64:65], v[24:25]
	v_fmac_f64_e32 v[116:117], v[70:71], v[28:29]
	v_fma_f64 v[64:65], v[72:73], v[28:29], -v[30:31]
	v_add_f64 v[24:25], v[20:21], v[74:75]
	v_add_f64 v[30:31], v[56:57], -v[32:33]
	v_add_f64 v[28:29], v[22:23], v[56:57]
	v_fmac_f64_e32 v[20:21], -0.5, v[26:27]
	v_add_f64 v[34:35], v[56:57], v[32:33]
	v_add_f64 v[26:27], v[28:29], v[32:33]
	v_fma_f64 v[32:33], s[2:3], v[30:31], v[20:21]
	v_fmac_f64_e32 v[20:21], s[4:5], v[30:31]
	v_add_f64 v[30:31], v[18:19], v[40:41]
	v_add_f64 v[42:43], v[16:17], v[82:83]
	v_add_f64 v[50:51], v[40:41], -v[38:39]
	v_add_f64 v[30:31], v[30:31], v[38:39]
	v_add_f64 v[38:39], v[40:41], v[38:39]
	;; [unrolled: 1-line block ×3, first 2 shown]
	v_fmac_f64_e32 v[18:19], -0.5, v[38:39]
	v_add_f64 v[40:41], v[82:83], -v[94:95]
	v_add_f64 v[42:43], v[98:99], v[102:103]
	v_add_f64 v[44:45], v[82:83], v[94:95]
	v_fma_f64 v[38:39], s[4:5], v[40:41], v[18:19]
	v_fmac_f64_e32 v[18:19], s[2:3], v[40:41]
	v_add_f64 v[40:41], v[12:13], v[98:99]
	v_fmac_f64_e32 v[12:13], -0.5, v[42:43]
	v_add_f64 v[42:43], v[46:47], -v[48:49]
	v_add_f64 v[36:37], v[74:75], -v[78:79]
	v_fmac_f64_e32 v[22:23], -0.5, v[34:35]
	v_fmac_f64_e32 v[16:17], -0.5, v[44:45]
	v_fma_f64 v[44:45], s[2:3], v[42:43], v[12:13]
	v_fmac_f64_e32 v[12:13], s[4:5], v[42:43]
	v_add_f64 v[42:43], v[14:15], v[46:47]
	v_add_f64 v[46:47], v[46:47], v[48:49]
	v_fma_f64 v[34:35], s[4:5], v[36:37], v[22:23]
	v_fmac_f64_e32 v[22:23], s[2:3], v[36:37]
	v_fma_f64 v[36:37], s[2:3], v[50:51], v[16:17]
	v_fmac_f64_e32 v[16:17], s[4:5], v[50:51]
	v_add_f64 v[42:43], v[42:43], v[48:49]
	v_fmac_f64_e32 v[14:15], -0.5, v[46:47]
	v_add_f64 v[48:49], v[98:99], -v[102:103]
	v_add_f64 v[50:51], v[106:107], v[110:111]
	v_fma_f64 v[46:47], s[4:5], v[48:49], v[14:15]
	v_fmac_f64_e32 v[14:15], s[2:3], v[48:49]
	v_add_f64 v[48:49], v[8:9], v[106:107]
	v_fmac_f64_e32 v[8:9], -0.5, v[50:51]
	v_add_f64 v[50:51], v[58:59], -v[54:55]
	v_fma_f64 v[52:53], s[2:3], v[50:51], v[8:9]
	v_fmac_f64_e32 v[8:9], s[4:5], v[50:51]
	v_add_f64 v[50:51], v[10:11], v[58:59]
	v_add_f64 v[50:51], v[50:51], v[54:55]
	;; [unrolled: 1-line block ×3, first 2 shown]
	v_fmac_f64_e32 v[10:11], -0.5, v[54:55]
	v_add_f64 v[56:57], v[106:107], -v[110:111]
	v_add_f64 v[58:59], v[114:115], v[116:117]
	v_fma_f64 v[54:55], s[4:5], v[56:57], v[10:11]
	v_fmac_f64_e32 v[10:11], s[2:3], v[56:57]
	v_add_f64 v[56:57], v[4:5], v[114:115]
	v_fmac_f64_e32 v[4:5], -0.5, v[58:59]
	v_add_f64 v[58:59], v[62:63], -v[64:65]
	v_fma_f64 v[60:61], s[2:3], v[58:59], v[4:5]
	v_fmac_f64_e32 v[4:5], s[4:5], v[58:59]
	v_add_f64 v[58:59], v[6:7], v[62:63]
	v_add_f64 v[62:63], v[62:63], v[64:65]
	;; [unrolled: 1-line block ×3, first 2 shown]
	v_fmac_f64_e32 v[6:7], -0.5, v[62:63]
	v_add_f64 v[64:65], v[114:115], -v[116:117]
	v_fma_f64 v[62:63], s[4:5], v[64:65], v[6:7]
	v_fmac_f64_e32 v[6:7], s[2:3], v[64:65]
	v_lshrrev_b32_e32 v64, 4, v88
	v_mul_u32_u24_e32 v64, 48, v64
	v_or_b32_e32 v64, v64, v118
	v_add_f64 v[24:25], v[24:25], v[78:79]
	v_lshl_add_u32 v64, v64, 4, 0
	ds_write_b128 v64, v[24:27]
	ds_write_b128 v64, v[32:35] offset:256
	ds_write_b128 v64, v[20:23] offset:512
	v_lshrrev_b32_e32 v20, 4, v93
	v_mul_u32_u24_e32 v20, 48, v20
	v_or_b32_e32 v20, v20, v118
	v_lshl_add_u32 v20, v20, 4, 0
	ds_write_b128 v20, v[28:31]
	ds_write_b128 v20, v[36:39] offset:256
	ds_write_b128 v20, v[16:19] offset:512
	v_lshrrev_b32_e32 v16, 4, v89
	v_mul_u32_u24_e32 v16, 48, v16
	v_or_b32_e32 v16, v16, v118
	v_add_f64 v[40:41], v[40:41], v[102:103]
	v_lshl_add_u32 v16, v16, 4, 0
	ds_write_b128 v16, v[40:43]
	ds_write_b128 v16, v[44:47] offset:256
	ds_write_b128 v16, v[12:15] offset:512
	v_lshrrev_b32_e32 v12, 4, v69
	v_mul_u32_u24_e32 v12, 48, v12
	v_or_b32_e32 v12, v12, v118
	v_add_f64 v[48:49], v[48:49], v[110:111]
	;; [unrolled: 8-line block ×3, first 2 shown]
	v_lshl_add_u32 v8, v8, 4, 0
	ds_write_b128 v8, v[56:59]
	ds_write_b128 v8, v[60:63] offset:256
	ds_write_b128 v8, v[4:7] offset:512
	s_waitcnt lgkmcnt(0)
	s_barrier
	ds_read_b128 v[32:35], v92
	ds_read_b128 v[28:31], v92 offset:1792
	ds_read_b128 v[80:83], v92 offset:3840
	;; [unrolled: 1-line block ×13, first 2 shown]
                                        ; implicit-def: $vgpr26_vgpr27
                                        ; implicit-def: $vgpr22_vgpr23
                                        ; implicit-def: $vgpr18_vgpr19
                                        ; implicit-def: $vgpr14_vgpr15
                                        ; implicit-def: $vgpr10_vgpr11
	s_and_saveexec_b64 s[2:3], vcc
	s_cbranch_execz .LBB0_37
; %bb.36:
	ds_read_b128 v[4:7], v92 offset:3584
	ds_read_b128 v[0:3], v92 offset:7424
	;; [unrolled: 1-line block ×7, first 2 shown]
.LBB0_37:
	s_or_b64 exec, exec, s[2:3]
	s_movk_i32 s2, 0xab
	v_mul_lo_u16_sdwa v90, v88, s2 dst_sel:DWORD dst_unused:UNUSED_PAD src0_sel:BYTE_0 src1_sel:DWORD
	v_lshrrev_b16_e32 v94, 13, v90
	v_mul_lo_u16_e32 v90, 48, v94
	v_sub_u16_e32 v95, v88, v90
	v_mov_b32_e32 v90, 6
	v_mul_u32_u24_sdwa v91, v95, v90 dst_sel:DWORD dst_unused:UNUSED_PAD src0_sel:BYTE_0 src1_sel:DWORD
	v_lshlrev_b32_e32 v114, 4, v91
	global_load_dwordx4 v[98:101], v114, s[8:9] offset:736
	global_load_dwordx4 v[102:105], v114, s[8:9] offset:752
	;; [unrolled: 1-line block ×4, first 2 shown]
	v_mul_lo_u16_sdwa v91, v93, s2 dst_sel:DWORD dst_unused:UNUSED_PAD src0_sel:BYTE_0 src1_sel:DWORD
	v_lshrrev_b16_e32 v96, 13, v91
	v_mul_lo_u16_e32 v91, 48, v96
	v_sub_u16_e32 v97, v93, v91
	v_mul_u32_u24_sdwa v90, v97, v90 dst_sel:DWORD dst_unused:UNUSED_PAD src0_sel:BYTE_0 src1_sel:DWORD
	v_lshlrev_b32_e32 v120, 4, v90
	s_mov_b32 s12, 0x37e14327
	s_mov_b32 s14, 0x36b3c0b5
	;; [unrolled: 1-line block ×20, first 2 shown]
	s_waitcnt vmcnt(3) lgkmcnt(11)
	v_mul_f64 v[90:91], v[82:83], v[100:101]
	v_mul_f64 v[100:101], v[80:81], v[100:101]
	v_fmac_f64_e32 v[90:91], v[80:81], v[98:99]
	v_fma_f64 v[80:81], v[82:83], v[98:99], -v[100:101]
	global_load_dwordx4 v[98:101], v114, s[8:9] offset:800
	s_waitcnt vmcnt(3) lgkmcnt(9)
	v_mul_f64 v[82:83], v[78:79], v[104:105]
	v_mul_f64 v[104:105], v[76:77], v[104:105]
	v_fmac_f64_e32 v[82:83], v[76:77], v[102:103]
	v_fma_f64 v[76:77], v[78:79], v[102:103], -v[104:105]
	global_load_dwordx4 v[102:105], v114, s[8:9] offset:816
	;; [unrolled: 6-line block ×6, first 2 shown]
	s_waitcnt vmcnt(3)
	v_mul_f64 v[60:61], v[58:59], v[108:109]
	v_mul_f64 v[62:63], v[56:57], v[108:109]
	v_fmac_f64_e32 v[60:61], v[56:57], v[106:107]
	v_fma_f64 v[56:57], v[58:59], v[106:107], -v[62:63]
	global_load_dwordx4 v[102:105], v120, s[8:9] offset:800
	s_waitcnt vmcnt(3)
	v_mul_f64 v[58:59], v[54:55], v[70:71]
	v_mul_f64 v[62:63], v[52:53], v[70:71]
	v_fmac_f64_e32 v[58:59], v[52:53], v[68:69]
	v_fma_f64 v[52:53], v[54:55], v[68:69], -v[62:63]
	global_load_dwordx4 v[68:71], v120, s[8:9] offset:816
	s_waitcnt lgkmcnt(0)
	s_barrier
	s_waitcnt vmcnt(3)
	v_mul_f64 v[62:63], v[46:47], v[66:67]
	v_fmac_f64_e32 v[62:63], v[44:45], v[64:65]
	s_waitcnt vmcnt(2)
	v_mul_f64 v[54:55], v[50:51], v[100:101]
	v_mul_f64 v[100:101], v[48:49], v[100:101]
	v_fmac_f64_e32 v[54:55], v[48:49], v[98:99]
	v_fma_f64 v[48:49], v[50:51], v[98:99], -v[100:101]
	v_mul_f64 v[50:51], v[44:45], v[66:67]
	s_waitcnt vmcnt(1)
	v_mul_f64 v[98:99], v[42:43], v[104:105]
	v_mul_f64 v[66:67], v[40:41], v[104:105]
	v_fma_f64 v[50:51], v[46:47], v[64:65], -v[50:51]
	v_fmac_f64_e32 v[98:99], v[40:41], v[102:103]
	v_fma_f64 v[102:103], v[42:43], v[102:103], -v[66:67]
	s_waitcnt vmcnt(0)
	v_mul_f64 v[100:101], v[38:39], v[70:71]
	v_mul_f64 v[44:45], v[36:37], v[70:71]
	v_fmac_f64_e32 v[100:101], v[36:37], v[68:69]
	v_fma_f64 v[104:105], v[38:39], v[68:69], -v[44:45]
	v_add_f64 v[36:37], v[90:91], v[116:117]
	v_add_f64 v[44:45], v[82:83], v[112:113]
	;; [unrolled: 1-line block ×4, first 2 shown]
	v_add_f64 v[66:67], v[76:77], -v[114:115]
	v_add_f64 v[68:69], v[78:79], v[74:75]
	v_add_f64 v[76:77], v[44:45], v[36:37]
	v_add_f64 v[42:43], v[80:81], -v[118:119]
	v_add_f64 v[70:71], v[72:73], v[110:111]
	v_add_f64 v[74:75], v[74:75], -v[78:79]
	;; [unrolled: 2-line block ×3, first 2 shown]
	v_add_f64 v[36:37], v[36:37], -v[68:69]
	v_add_f64 v[44:45], v[68:69], -v[44:45]
	v_add_f64 v[68:69], v[68:69], v[76:77]
	v_add_f64 v[64:65], v[82:83], -v[112:113]
	v_add_f64 v[72:73], v[110:111], -v[72:73]
	;; [unrolled: 1-line block ×5, first 2 shown]
	v_add_f64 v[70:71], v[70:71], v[78:79]
	v_add_f64 v[32:33], v[32:33], v[68:69]
	v_add_f64 v[40:41], v[90:91], -v[116:117]
	v_add_f64 v[90:91], v[74:75], v[64:65]
	v_add_f64 v[106:107], v[72:73], v[66:67]
	v_add_f64 v[108:109], v[74:75], -v[64:65]
	v_add_f64 v[110:111], v[72:73], -v[66:67]
	;; [unrolled: 1-line block ×3, first 2 shown]
	v_add_f64 v[34:35], v[34:35], v[70:71]
	v_mov_b64_e32 v[112:113], v[32:33]
	v_add_f64 v[74:75], v[40:41], -v[74:75]
	v_add_f64 v[72:73], v[42:43], -v[72:73]
	;; [unrolled: 1-line block ×3, first 2 shown]
	v_add_f64 v[40:41], v[90:91], v[40:41]
	v_add_f64 v[42:43], v[106:107], v[42:43]
	v_mul_f64 v[36:37], v[36:37], s[12:13]
	v_mul_f64 v[76:77], v[44:45], s[14:15]
	;; [unrolled: 1-line block ×6, first 2 shown]
	v_fmac_f64_e32 v[112:113], s[16:17], v[68:69]
	v_mov_b64_e32 v[68:69], v[34:35]
	v_mul_f64 v[38:39], v[38:39], s[12:13]
	v_mul_f64 v[108:109], v[64:65], s[2:3]
	v_fmac_f64_e32 v[68:69], s[16:17], v[70:71]
	v_fma_f64 v[70:71], v[80:81], s[4:5], -v[76:77]
	v_fma_f64 v[76:77], v[82:83], s[4:5], -v[78:79]
	;; [unrolled: 1-line block ×5, first 2 shown]
	v_fmac_f64_e32 v[106:107], s[26:27], v[72:73]
	v_fma_f64 v[72:73], v[72:73], s[24:25], -v[110:111]
	v_fmac_f64_e32 v[36:37], s[14:15], v[44:45]
	v_fma_f64 v[44:45], v[82:83], s[22:23], -v[38:39]
	v_fmac_f64_e32 v[38:39], s[14:15], v[46:47]
	v_fmac_f64_e32 v[90:91], s[26:27], v[74:75]
	v_fma_f64 v[74:75], v[74:75], s[24:25], -v[108:109]
	v_add_f64 v[66:67], v[70:71], v[112:113]
	v_add_f64 v[70:71], v[76:77], v[68:69]
	;; [unrolled: 1-line block ×3, first 2 shown]
	v_fmac_f64_e32 v[80:81], s[20:21], v[40:41]
	v_fmac_f64_e32 v[64:65], s[20:21], v[42:43]
	;; [unrolled: 1-line block ×3, first 2 shown]
	v_add_f64 v[82:83], v[36:37], v[112:113]
	v_add_f64 v[108:109], v[38:39], v[68:69]
	;; [unrolled: 1-line block ×3, first 2 shown]
	v_fmac_f64_e32 v[90:91], s[20:21], v[40:41]
	v_fmac_f64_e32 v[106:107], s[20:21], v[42:43]
	;; [unrolled: 1-line block ×3, first 2 shown]
	v_add_f64 v[40:41], v[72:73], v[76:77]
	v_add_f64 v[44:45], v[66:67], -v[64:65]
	v_add_f64 v[46:47], v[80:81], v[70:71]
	v_add_f64 v[64:65], v[64:65], v[66:67]
	v_add_f64 v[66:67], v[70:71], -v[80:81]
	v_add_f64 v[68:69], v[76:77], -v[72:73]
	v_add_f64 v[76:77], v[60:61], v[100:101]
	v_add_f64 v[80:81], v[58:59], v[98:99]
	;; [unrolled: 1-line block ×3, first 2 shown]
	v_add_f64 v[38:39], v[108:109], -v[90:91]
	v_add_f64 v[42:43], v[78:79], -v[74:75]
	v_add_f64 v[70:71], v[74:75], v[78:79]
	v_add_f64 v[72:73], v[82:83], -v[106:107]
	v_add_f64 v[74:75], v[90:91], v[108:109]
	v_add_f64 v[78:79], v[56:57], v[104:105]
	;; [unrolled: 1-line block ×3, first 2 shown]
	v_add_f64 v[58:59], v[58:59], -v[98:99]
	v_add_f64 v[90:91], v[54:55], v[62:63]
	v_add_f64 v[98:99], v[48:49], v[50:51]
	v_add_f64 v[48:49], v[50:51], -v[48:49]
	v_add_f64 v[50:51], v[80:81], v[76:77]
	v_add_f64 v[54:55], v[62:63], -v[54:55]
	v_add_f64 v[62:63], v[82:83], v[78:79]
	v_add_f64 v[50:51], v[90:91], v[50:51]
	;; [unrolled: 1-line block ×4, first 2 shown]
	v_add_f64 v[60:61], v[60:61], -v[100:101]
	v_add_f64 v[56:57], v[56:57], -v[104:105]
	;; [unrolled: 1-line block ×8, first 2 shown]
	v_add_f64 v[30:31], v[30:31], v[62:63]
	v_mov_b64_e32 v[112:113], v[28:29]
	v_add_f64 v[78:79], v[78:79], -v[98:99]
	v_add_f64 v[104:105], v[54:55], v[58:59]
	v_add_f64 v[106:107], v[48:49], v[52:53]
	v_add_f64 v[108:109], v[54:55], -v[58:59]
	v_add_f64 v[110:111], v[48:49], -v[52:53]
	;; [unrolled: 1-line block ×4, first 2 shown]
	v_mul_f64 v[76:77], v[76:77], s[12:13]
	v_mul_f64 v[90:91], v[80:81], s[14:15]
	;; [unrolled: 1-line block ×3, first 2 shown]
	v_fmac_f64_e32 v[112:113], s[16:17], v[50:51]
	v_mov_b64_e32 v[50:51], v[30:31]
	v_add_f64 v[54:55], v[60:61], -v[54:55]
	v_add_f64 v[48:49], v[56:57], -v[48:49]
	v_add_f64 v[60:61], v[104:105], v[60:61]
	v_add_f64 v[56:57], v[106:107], v[56:57]
	v_mul_f64 v[78:79], v[78:79], s[12:13]
	v_mul_f64 v[104:105], v[108:109], s[18:19]
	;; [unrolled: 1-line block ×5, first 2 shown]
	v_fmac_f64_e32 v[50:51], s[16:17], v[62:63]
	v_fma_f64 v[62:63], v[100:101], s[4:5], -v[90:91]
	v_fma_f64 v[90:91], v[102:103], s[4:5], -v[98:99]
	;; [unrolled: 1-line block ×3, first 2 shown]
	v_fmac_f64_e32 v[76:77], s[14:15], v[80:81]
	v_fma_f64 v[80:81], v[102:103], s[22:23], -v[78:79]
	v_fma_f64 v[102:103], v[54:55], s[24:25], -v[108:109]
	;; [unrolled: 1-line block ×3, first 2 shown]
	v_add_f64 v[110:111], v[76:77], v[112:113]
	v_add_f64 v[76:77], v[90:91], v[50:51]
	v_mov_b32_e32 v91, 4
	v_mul_u32_u24_e32 v90, 0x1500, v94
	v_lshlrev_b32_sdwa v94, v91, v95 dst_sel:DWORD dst_unused:UNUSED_PAD src0_sel:DWORD src1_sel:BYTE_0
	v_add3_u32 v90, 0, v90, v94
	v_fmac_f64_e32 v[78:79], s[14:15], v[82:83]
	v_fma_f64 v[82:83], v[58:59], s[2:3], -v[104:105]
	v_fmac_f64_e32 v[104:105], s[26:27], v[54:55]
	v_fma_f64 v[100:101], v[52:53], s[2:3], -v[106:107]
	v_fmac_f64_e32 v[106:107], s[26:27], v[48:49]
	ds_write_b128 v90, v[32:35]
	ds_write_b128 v90, v[36:39] offset:768
	ds_write_b128 v90, v[40:43] offset:1536
	;; [unrolled: 1-line block ×6, first 2 shown]
	v_mul_u32_u24_e32 v32, 0x1500, v96
	v_lshlrev_b32_sdwa v33, v91, v97 dst_sel:DWORD dst_unused:UNUSED_PAD src0_sel:DWORD src1_sel:BYTE_0
	v_add_f64 v[114:115], v[78:79], v[50:51]
	v_add_f64 v[62:63], v[62:63], v[112:113]
	;; [unrolled: 1-line block ×4, first 2 shown]
	v_fmac_f64_e32 v[104:105], s[20:21], v[60:61]
	v_fmac_f64_e32 v[106:107], s[20:21], v[56:57]
	;; [unrolled: 1-line block ×6, first 2 shown]
	v_add3_u32 v32, 0, v32, v33
	v_add_f64 v[48:49], v[106:107], v[110:111]
	v_add_f64 v[50:51], v[114:115], -v[104:105]
	v_add_f64 v[52:53], v[108:109], v[78:79]
	v_add_f64 v[54:55], v[80:81], -v[102:103]
	v_add_f64 v[56:57], v[62:63], -v[100:101]
	v_add_f64 v[58:59], v[82:83], v[76:77]
	v_add_f64 v[60:61], v[100:101], v[62:63]
	v_add_f64 v[62:63], v[76:77], -v[82:83]
	v_add_f64 v[76:77], v[78:79], -v[108:109]
	v_add_f64 v[78:79], v[102:103], v[80:81]
	v_add_f64 v[80:81], v[110:111], -v[106:107]
	v_add_f64 v[82:83], v[104:105], v[114:115]
	ds_write_b128 v32, v[28:31]
	ds_write_b128 v32, v[48:51] offset:768
	ds_write_b128 v32, v[52:55] offset:1536
	;; [unrolled: 1-line block ×6, first 2 shown]
	s_and_saveexec_b64 s[28:29], vcc
	s_cbranch_execz .LBB0_39
; %bb.38:
	s_mov_b32 s30, 0xaaab
	v_mul_u32_u24_sdwa v28, v89, s30 dst_sel:DWORD dst_unused:UNUSED_PAD src0_sel:WORD_0 src1_sel:DWORD
	v_lshrrev_b32_e32 v28, 21, v28
	v_mul_lo_u16_e32 v28, 48, v28
	v_sub_u16_e32 v64, v89, v28
	v_mul_u32_u24_e32 v28, 6, v64
	v_lshlrev_b32_e32 v52, 4, v28
	global_load_dwordx4 v[28:31], v52, s[8:9] offset:784
	global_load_dwordx4 v[32:35], v52, s[8:9] offset:768
	;; [unrolled: 1-line block ×6, first 2 shown]
	s_waitcnt vmcnt(5)
	v_mul_f64 v[52:53], v[18:19], v[30:31]
	s_waitcnt vmcnt(4)
	v_mul_f64 v[54:55], v[14:15], v[34:35]
	;; [unrolled: 2-line block ×6, first 2 shown]
	v_mul_f64 v[34:35], v[12:13], v[34:35]
	v_mul_f64 v[38:39], v[8:9], v[38:39]
	;; [unrolled: 1-line block ×6, first 2 shown]
	v_fmac_f64_e32 v[54:55], v[12:13], v[32:33]
	v_fmac_f64_e32 v[56:57], v[8:9], v[36:37]
	;; [unrolled: 1-line block ×5, first 2 shown]
	v_fma_f64 v[0:1], v[14:15], v[32:33], -v[34:35]
	v_fma_f64 v[10:11], v[10:11], v[36:37], -v[38:39]
	;; [unrolled: 1-line block ×5, first 2 shown]
	v_fmac_f64_e32 v[52:53], v[16:17], v[28:29]
	v_fma_f64 v[8:9], v[18:19], v[28:29], -v[30:31]
	v_add_f64 v[24:25], v[10:11], v[12:13]
	v_add_f64 v[26:27], v[2:3], v[14:15]
	;; [unrolled: 1-line block ×4, first 2 shown]
	v_add_f64 v[16:17], v[52:53], -v[54:55]
	v_add_f64 v[18:19], v[56:57], -v[58:59]
	;; [unrolled: 1-line block ×3, first 2 shown]
	v_add_f64 v[22:23], v[0:1], v[8:9]
	v_add_f64 v[28:29], v[54:55], v[52:53]
	v_add_f64 v[0:1], v[8:9], -v[0:1]
	v_add_f64 v[8:9], v[10:11], -v[12:13]
	v_add_f64 v[36:37], v[24:25], v[26:27]
	v_add_f64 v[42:43], v[30:31], v[32:33]
	v_add_f64 v[12:13], v[2:3], -v[14:15]
	v_add_f64 v[2:3], v[16:17], v[18:19]
	v_add_f64 v[10:11], v[16:17], -v[18:19]
	v_add_f64 v[14:15], v[20:21], -v[16:17]
	;; [unrolled: 1-line block ×6, first 2 shown]
	v_add_f64 v[44:45], v[0:1], v[8:9]
	v_add_f64 v[18:19], v[18:19], -v[20:21]
	v_add_f64 v[22:23], v[22:23], v[36:37]
	v_add_f64 v[28:29], v[28:29], v[42:43]
	v_add_f64 v[46:47], v[0:1], -v[8:9]
	v_add_f64 v[48:49], v[12:13], -v[0:1]
	;; [unrolled: 1-line block ×4, first 2 shown]
	v_add_f64 v[20:21], v[2:3], v[20:21]
	v_mul_f64 v[30:31], v[10:11], s[18:19]
	v_mul_f64 v[36:37], v[40:41], s[12:13]
	v_add_f64 v[40:41], v[44:45], v[12:13]
	v_mul_f64 v[44:45], v[18:19], s[2:3]
	v_add_f64 v[2:3], v[6:7], v[22:23]
	v_add_f64 v[0:1], v[4:5], v[28:29]
	v_mul_f64 v[10:11], v[34:35], s[12:13]
	v_mul_f64 v[42:43], v[46:47], s[18:19]
	v_fma_f64 v[46:47], s[26:27], v[14:15], v[30:31]
	v_fma_f64 v[6:7], s[14:15], v[38:39], v[36:37]
	v_fma_f64 v[44:45], v[14:15], s[24:25], -v[44:45]
	v_fma_f64 v[14:15], v[26:27], s[22:23], -v[36:37]
	v_mov_b64_e32 v[36:37], v[2:3]
	v_mov_b64_e32 v[50:51], v[0:1]
	v_add_f64 v[12:13], v[8:9], -v[12:13]
	v_mul_f64 v[32:33], v[16:17], s[14:15]
	v_mul_f64 v[34:35], v[38:39], s[14:15]
	v_fma_f64 v[16:17], s[14:15], v[16:17], v[10:11]
	v_fmac_f64_e32 v[36:37], s[16:17], v[22:23]
	v_fmac_f64_e32 v[50:51], s[16:17], v[28:29]
	v_mul_f64 v[8:9], v[12:13], s[2:3]
	v_fma_f64 v[18:19], v[18:19], s[2:3], -v[30:31]
	v_fma_f64 v[38:39], s[26:27], v[48:49], v[42:43]
	v_fma_f64 v[4:5], v[24:25], s[22:23], -v[10:11]
	v_fmac_f64_e32 v[46:47], s[20:21], v[20:21]
	v_fmac_f64_e32 v[44:45], s[20:21], v[20:21]
	v_add_f64 v[28:29], v[16:17], v[36:37]
	v_add_f64 v[54:55], v[14:15], v[50:51]
	v_fma_f64 v[48:49], v[48:49], s[24:25], -v[8:9]
	v_fma_f64 v[14:15], v[24:25], s[4:5], -v[32:33]
	v_fmac_f64_e32 v[18:19], s[20:21], v[20:21]
	v_fma_f64 v[20:21], v[12:13], s[2:3], -v[42:43]
	v_fma_f64 v[12:13], v[26:27], s[4:5], -v[34:35]
	v_fmac_f64_e32 v[38:39], s[20:21], v[40:41]
	v_add_f64 v[52:53], v[6:7], v[50:51]
	v_add_f64 v[22:23], v[4:5], v[36:37]
	;; [unrolled: 1-line block ×3, first 2 shown]
	v_fmac_f64_e32 v[48:49], s[20:21], v[40:41]
	v_add_f64 v[16:17], v[14:15], v[36:37]
	v_fmac_f64_e32 v[20:21], s[20:21], v[40:41]
	v_add_f64 v[24:25], v[12:13], v[50:51]
	v_add_f64 v[26:27], v[28:29], -v[46:47]
	v_lshl_add_u32 v28, v64, 4, 0
	v_add_f64 v[4:5], v[52:53], -v[38:39]
	v_add_f64 v[10:11], v[44:45], v[22:23]
	v_add_f64 v[8:9], v[54:55], -v[48:49]
	v_add_f64 v[14:15], v[16:17], -v[18:19]
	v_add_f64 v[12:13], v[20:21], v[24:25]
	v_add_f64 v[18:19], v[18:19], v[16:17]
	v_add_f64 v[16:17], v[24:25], -v[20:21]
	v_add_f64 v[22:23], v[22:23], -v[44:45]
	v_add_f64 v[20:21], v[48:49], v[54:55]
	v_add_f64 v[24:25], v[38:39], v[52:53]
	ds_write_b128 v28, v[0:3] offset:21504
	ds_write_b128 v28, v[24:27] offset:22272
	;; [unrolled: 1-line block ×7, first 2 shown]
.LBB0_39:
	s_or_b64 exec, exec, s[28:29]
	v_lshlrev_b32_e32 v28, 2, v88
	v_mov_b32_e32 v29, 0
	v_lshl_add_u64 v[0:1], v[28:29], 4, s[8:9]
	s_movk_i32 s4, 0x1000
	s_mov_b64 s[2:3], 0x14e0
	v_add_co_u32_e32 v2, vcc, s4, v0
	v_lshlrev_b32_e32 v28, 2, v93
	s_nop 0
	v_addc_co_u32_e32 v3, vcc, 0, v1, vcc
	v_lshl_add_u64 v[0:1], v[0:1], 0, s[2:3]
	s_waitcnt lgkmcnt(0)
	s_barrier
	global_load_dwordx4 v[12:15], v[2:3], off offset:1248
	global_load_dwordx4 v[16:19], v[0:1], off offset:16
	;; [unrolled: 1-line block ×4, first 2 shown]
	v_lshl_add_u64 v[0:1], v[28:29], 4, s[8:9]
	v_add_co_u32_e32 v2, vcc, s4, v0
	v_lshlrev_b32_e32 v28, 2, v89
	s_nop 0
	v_addc_co_u32_e32 v3, vcc, 0, v1, vcc
	v_lshl_add_u64 v[0:1], v[0:1], 0, s[2:3]
	global_load_dwordx4 v[30:33], v[2:3], off offset:1248
	global_load_dwordx4 v[34:37], v[0:1], off offset:16
	;; [unrolled: 1-line block ×4, first 2 shown]
	v_lshl_add_u64 v[0:1], v[28:29], 4, s[8:9]
	v_add_co_u32_e32 v2, vcc, s4, v0
	s_mov_b32 s4, 0x134454ff
	s_nop 0
	v_addc_co_u32_e32 v3, vcc, 0, v1, vcc
	global_load_dwordx4 v[46:49], v[2:3], off offset:1248
	v_lshl_add_u64 v[0:1], v[0:1], 0, s[2:3]
	global_load_dwordx4 v[50:53], v[0:1], off offset:16
	global_load_dwordx4 v[54:57], v[0:1], off offset:32
	;; [unrolled: 1-line block ×3, first 2 shown]
	ds_read_b128 v[8:11], v92
	ds_read_b128 v[4:7], v92 offset:1792
	ds_read_b128 v[62:65], v92 offset:10752
	ds_read_b128 v[66:69], v92 offset:12544
	ds_read_b128 v[70:73], v92 offset:21504
	ds_read_b128 v[74:77], v92 offset:23296
	ds_read_b128 v[78:81], v92 offset:5376
	ds_read_b128 v[0:3], v92 offset:3584
	ds_read_b128 v[94:97], v92 offset:7168
	ds_read_b128 v[98:101], v92 offset:8960
	ds_read_b128 v[102:105], v92 offset:16128
	ds_read_b128 v[106:109], v92 offset:14336
	ds_read_b128 v[110:113], v92 offset:17920
	ds_read_b128 v[114:117], v92 offset:19712
	ds_read_b128 v[118:121], v92 offset:25088
	s_mov_b32 s5, 0xbfee6f0e
	s_mov_b32 s2, 0x4755a5e
	s_mov_b32 s13, 0x3fee6f0e
	s_mov_b32 s12, s4
	s_mov_b32 s3, 0xbfe2cf23
	s_mov_b32 s8, 0x372fe950
	s_mov_b32 s15, 0x3fe2cf23
	s_mov_b32 s14, s2
	s_mov_b32 s9, 0x3fd3c6ef
	s_waitcnt lgkmcnt(0)
	s_barrier
	s_waitcnt vmcnt(10)
	v_mul_f64 v[90:91], v[64:65], v[18:19]
	v_mul_f64 v[82:83], v[80:81], v[14:15]
	;; [unrolled: 1-line block ×4, first 2 shown]
	s_waitcnt vmcnt(9)
	v_mul_f64 v[122:123], v[104:105], v[22:23]
	v_fmac_f64_e32 v[82:83], v[78:79], v[12:13]
	v_fma_f64 v[78:79], v[80:81], v[12:13], -v[14:15]
	v_mul_f64 v[12:13], v[102:103], v[22:23]
	s_waitcnt vmcnt(8)
	v_mul_f64 v[22:23], v[72:73], v[26:27]
	v_mul_f64 v[14:15], v[70:71], v[26:27]
	v_fmac_f64_e32 v[90:91], v[62:63], v[16:17]
	v_fma_f64 v[62:63], v[64:65], v[16:17], -v[18:19]
	v_fma_f64 v[64:65], v[104:105], v[20:21], -v[12:13]
	v_fmac_f64_e32 v[22:23], v[70:71], v[24:25]
	v_fma_f64 v[70:71], v[72:73], v[24:25], -v[14:15]
	s_waitcnt vmcnt(7)
	v_mul_f64 v[72:73], v[96:97], v[32:33]
	v_mul_f64 v[12:13], v[94:95], v[32:33]
	v_fmac_f64_e32 v[72:73], v[94:95], v[30:31]
	v_fma_f64 v[94:95], v[96:97], v[30:31], -v[12:13]
	s_waitcnt vmcnt(3)
	v_mul_f64 v[12:13], v[98:99], v[48:49]
	v_fma_f64 v[30:31], v[100:101], v[46:47], -v[12:13]
	s_waitcnt vmcnt(2)
	v_mul_f64 v[12:13], v[106:107], v[52:53]
	v_mul_f64 v[80:81], v[68:69], v[36:37]
	;; [unrolled: 1-line block ×3, first 2 shown]
	v_fma_f64 v[32:33], v[108:109], v[50:51], -v[12:13]
	s_waitcnt vmcnt(1)
	v_mul_f64 v[12:13], v[114:115], v[56:57]
	v_fmac_f64_e32 v[80:81], v[66:67], v[34:35]
	v_fma_f64 v[66:67], v[68:69], v[34:35], -v[14:15]
	v_fma_f64 v[34:35], v[116:117], v[54:55], -v[12:13]
	s_waitcnt vmcnt(0)
	v_mul_f64 v[12:13], v[118:119], v[60:61]
	v_fma_f64 v[36:37], v[120:121], v[58:59], -v[12:13]
	v_add_f64 v[12:13], v[8:9], v[82:83]
	v_fmac_f64_e32 v[122:123], v[102:103], v[20:21]
	v_add_f64 v[12:13], v[12:13], v[90:91]
	v_mul_f64 v[16:17], v[110:111], v[40:41]
	v_add_f64 v[12:13], v[12:13], v[122:123]
	v_fma_f64 v[68:69], v[112:113], v[38:39], -v[16:17]
	v_add_f64 v[16:17], v[12:13], v[22:23]
	v_add_f64 v[12:13], v[90:91], v[122:123]
	v_mul_f64 v[104:105], v[76:77], v[44:45]
	v_mul_f64 v[18:19], v[74:75], v[44:45]
	v_fma_f64 v[12:13], -0.5, v[12:13], v[8:9]
	v_add_f64 v[14:15], v[78:79], -v[70:71]
	v_fmac_f64_e32 v[104:105], v[74:75], v[42:43]
	v_fma_f64 v[74:75], v[76:77], v[42:43], -v[18:19]
	v_fma_f64 v[20:21], s[4:5], v[14:15], v[12:13]
	v_add_f64 v[18:19], v[62:63], -v[64:65]
	v_add_f64 v[24:25], v[82:83], -v[90:91]
	;; [unrolled: 1-line block ×3, first 2 shown]
	v_fmac_f64_e32 v[12:13], s[12:13], v[14:15]
	v_fmac_f64_e32 v[20:21], s[2:3], v[18:19]
	v_add_f64 v[24:25], v[24:25], v[26:27]
	v_fmac_f64_e32 v[12:13], s[14:15], v[18:19]
	v_fmac_f64_e32 v[20:21], s[8:9], v[24:25]
	;; [unrolled: 1-line block ×3, first 2 shown]
	v_add_f64 v[24:25], v[82:83], v[22:23]
	v_fmac_f64_e32 v[8:9], -0.5, v[24:25]
	v_fma_f64 v[24:25], s[12:13], v[18:19], v[8:9]
	v_fmac_f64_e32 v[8:9], s[4:5], v[18:19]
	v_fmac_f64_e32 v[24:25], s[2:3], v[14:15]
	;; [unrolled: 1-line block ×3, first 2 shown]
	v_add_f64 v[14:15], v[10:11], v[78:79]
	v_mul_f64 v[102:103], v[112:113], v[40:41]
	v_add_f64 v[14:15], v[14:15], v[62:63]
	v_fmac_f64_e32 v[102:103], v[110:111], v[38:39]
	v_mul_f64 v[38:39], v[100:101], v[48:49]
	v_add_f64 v[14:15], v[14:15], v[64:65]
	v_fmac_f64_e32 v[38:39], v[98:99], v[46:47]
	v_add_f64 v[26:27], v[90:91], -v[82:83]
	v_add_f64 v[46:47], v[122:123], -v[22:23]
	v_add_f64 v[18:19], v[14:15], v[70:71]
	v_add_f64 v[14:15], v[62:63], v[64:65]
	v_mul_f64 v[40:41], v[108:109], v[52:53]
	v_add_f64 v[26:27], v[26:27], v[46:47]
	v_fma_f64 v[14:15], -0.5, v[14:15], v[10:11]
	v_add_f64 v[46:47], v[82:83], -v[22:23]
	v_fmac_f64_e32 v[40:41], v[106:107], v[50:51]
	v_fmac_f64_e32 v[24:25], s[8:9], v[26:27]
	;; [unrolled: 1-line block ×3, first 2 shown]
	v_fma_f64 v[22:23], s[12:13], v[46:47], v[14:15]
	v_add_f64 v[48:49], v[90:91], -v[122:123]
	v_add_f64 v[26:27], v[78:79], -v[62:63]
	;; [unrolled: 1-line block ×3, first 2 shown]
	v_fmac_f64_e32 v[14:15], s[4:5], v[46:47]
	v_fmac_f64_e32 v[22:23], s[14:15], v[48:49]
	v_add_f64 v[26:27], v[26:27], v[50:51]
	v_fmac_f64_e32 v[14:15], s[2:3], v[48:49]
	v_fmac_f64_e32 v[22:23], s[8:9], v[26:27]
	;; [unrolled: 1-line block ×3, first 2 shown]
	v_add_f64 v[26:27], v[78:79], v[70:71]
	v_fmac_f64_e32 v[10:11], -0.5, v[26:27]
	v_fma_f64 v[26:27], s[4:5], v[48:49], v[10:11]
	v_add_f64 v[50:51], v[62:63], -v[78:79]
	v_add_f64 v[52:53], v[64:65], -v[70:71]
	v_fmac_f64_e32 v[10:11], s[12:13], v[48:49]
	v_fmac_f64_e32 v[26:27], s[14:15], v[46:47]
	v_add_f64 v[50:51], v[50:51], v[52:53]
	v_fmac_f64_e32 v[10:11], s[2:3], v[46:47]
	v_add_f64 v[48:49], v[80:81], v[102:103]
	v_mul_f64 v[42:43], v[116:117], v[56:57]
	v_mul_f64 v[44:45], v[120:121], v[60:61]
	v_fmac_f64_e32 v[26:27], s[8:9], v[50:51]
	v_fmac_f64_e32 v[10:11], s[8:9], v[50:51]
	v_fma_f64 v[50:51], -0.5, v[48:49], v[4:5]
	v_add_f64 v[48:49], v[94:95], -v[74:75]
	v_fmac_f64_e32 v[42:43], v[114:115], v[54:55]
	v_fmac_f64_e32 v[44:45], v[118:119], v[58:59]
	v_fma_f64 v[54:55], s[4:5], v[48:49], v[50:51]
	v_add_f64 v[52:53], v[66:67], -v[68:69]
	v_add_f64 v[56:57], v[72:73], -v[80:81]
	;; [unrolled: 1-line block ×3, first 2 shown]
	v_fmac_f64_e32 v[50:51], s[12:13], v[48:49]
	v_fmac_f64_e32 v[54:55], s[2:3], v[52:53]
	v_add_f64 v[56:57], v[56:57], v[58:59]
	v_fmac_f64_e32 v[50:51], s[14:15], v[52:53]
	v_fmac_f64_e32 v[54:55], s[8:9], v[56:57]
	;; [unrolled: 1-line block ×3, first 2 shown]
	v_add_f64 v[56:57], v[72:73], v[104:105]
	v_add_f64 v[46:47], v[4:5], v[72:73]
	v_fmac_f64_e32 v[4:5], -0.5, v[56:57]
	v_fma_f64 v[58:59], s[12:13], v[52:53], v[4:5]
	v_add_f64 v[56:57], v[80:81], -v[72:73]
	v_add_f64 v[60:61], v[102:103], -v[104:105]
	v_fmac_f64_e32 v[4:5], s[4:5], v[52:53]
	v_add_f64 v[52:53], v[66:67], v[68:69]
	v_fmac_f64_e32 v[58:59], s[2:3], v[48:49]
	v_add_f64 v[56:57], v[56:57], v[60:61]
	v_fmac_f64_e32 v[4:5], s[14:15], v[48:49]
	v_fma_f64 v[52:53], -0.5, v[52:53], v[6:7]
	v_add_f64 v[62:63], v[72:73], -v[104:105]
	v_fmac_f64_e32 v[58:59], s[8:9], v[56:57]
	v_fmac_f64_e32 v[4:5], s[8:9], v[56:57]
	v_fma_f64 v[56:57], s[12:13], v[62:63], v[52:53]
	v_add_f64 v[64:65], v[80:81], -v[102:103]
	v_add_f64 v[60:61], v[94:95], -v[66:67]
	;; [unrolled: 1-line block ×3, first 2 shown]
	v_fmac_f64_e32 v[52:53], s[4:5], v[62:63]
	v_fmac_f64_e32 v[56:57], s[14:15], v[64:65]
	v_add_f64 v[60:61], v[60:61], v[70:71]
	v_fmac_f64_e32 v[52:53], s[2:3], v[64:65]
	v_add_f64 v[48:49], v[6:7], v[94:95]
	v_fmac_f64_e32 v[56:57], s[8:9], v[60:61]
	v_fmac_f64_e32 v[52:53], s[8:9], v[60:61]
	v_add_f64 v[60:61], v[94:95], v[74:75]
	v_add_f64 v[48:49], v[48:49], v[66:67]
	v_fmac_f64_e32 v[6:7], -0.5, v[60:61]
	v_add_f64 v[48:49], v[48:49], v[68:69]
	v_fma_f64 v[60:61], s[4:5], v[64:65], v[6:7]
	v_add_f64 v[66:67], v[66:67], -v[94:95]
	v_add_f64 v[68:69], v[68:69], -v[74:75]
	v_fmac_f64_e32 v[6:7], s[12:13], v[64:65]
	v_fmac_f64_e32 v[60:61], s[14:15], v[62:63]
	v_add_f64 v[66:67], v[66:67], v[68:69]
	v_fmac_f64_e32 v[6:7], s[2:3], v[62:63]
	v_add_f64 v[64:65], v[40:41], v[42:43]
	v_fmac_f64_e32 v[60:61], s[8:9], v[66:67]
	v_fmac_f64_e32 v[6:7], s[8:9], v[66:67]
	v_fma_f64 v[66:67], -0.5, v[64:65], v[0:1]
	v_add_f64 v[64:65], v[30:31], -v[36:37]
	v_add_f64 v[48:49], v[48:49], v[74:75]
	v_fma_f64 v[70:71], s[4:5], v[64:65], v[66:67]
	v_add_f64 v[68:69], v[32:33], -v[34:35]
	v_add_f64 v[72:73], v[38:39], -v[40:41]
	;; [unrolled: 1-line block ×3, first 2 shown]
	v_fmac_f64_e32 v[66:67], s[12:13], v[64:65]
	v_fmac_f64_e32 v[70:71], s[2:3], v[68:69]
	v_add_f64 v[72:73], v[72:73], v[74:75]
	v_fmac_f64_e32 v[66:67], s[14:15], v[68:69]
	v_fmac_f64_e32 v[70:71], s[8:9], v[72:73]
	v_fmac_f64_e32 v[66:67], s[8:9], v[72:73]
	v_add_f64 v[72:73], v[38:39], v[44:45]
	v_add_f64 v[62:63], v[0:1], v[38:39]
	v_fmac_f64_e32 v[0:1], -0.5, v[72:73]
	v_add_f64 v[62:63], v[62:63], v[40:41]
	v_fma_f64 v[74:75], s[12:13], v[68:69], v[0:1]
	v_add_f64 v[72:73], v[40:41], -v[38:39]
	v_add_f64 v[76:77], v[42:43], -v[44:45]
	v_fmac_f64_e32 v[0:1], s[4:5], v[68:69]
	v_add_f64 v[68:69], v[32:33], v[34:35]
	v_add_f64 v[62:63], v[62:63], v[42:43]
	v_fmac_f64_e32 v[74:75], s[2:3], v[64:65]
	v_add_f64 v[72:73], v[72:73], v[76:77]
	v_fmac_f64_e32 v[0:1], s[14:15], v[64:65]
	v_fma_f64 v[68:69], -0.5, v[68:69], v[2:3]
	v_add_f64 v[38:39], v[38:39], -v[44:45]
	v_add_f64 v[62:63], v[62:63], v[44:45]
	v_fmac_f64_e32 v[74:75], s[8:9], v[72:73]
	v_fmac_f64_e32 v[0:1], s[8:9], v[72:73]
	v_fma_f64 v[72:73], s[12:13], v[38:39], v[68:69]
	v_add_f64 v[40:41], v[40:41], -v[42:43]
	v_add_f64 v[42:43], v[30:31], -v[32:33]
	;; [unrolled: 1-line block ×3, first 2 shown]
	v_fmac_f64_e32 v[68:69], s[4:5], v[38:39]
	v_fmac_f64_e32 v[72:73], s[14:15], v[40:41]
	v_add_f64 v[42:43], v[42:43], v[44:45]
	v_fmac_f64_e32 v[68:69], s[2:3], v[40:41]
	v_fmac_f64_e32 v[72:73], s[8:9], v[42:43]
	;; [unrolled: 1-line block ×3, first 2 shown]
	v_add_f64 v[42:43], v[30:31], v[36:37]
	v_add_f64 v[64:65], v[2:3], v[30:31]
	v_fmac_f64_e32 v[2:3], -0.5, v[42:43]
	v_add_f64 v[46:47], v[46:47], v[80:81]
	v_add_f64 v[64:65], v[64:65], v[32:33]
	v_fma_f64 v[76:77], s[4:5], v[40:41], v[2:3]
	v_add_f64 v[30:31], v[32:33], -v[30:31]
	v_add_f64 v[32:33], v[34:35], -v[36:37]
	v_fmac_f64_e32 v[2:3], s[12:13], v[40:41]
	v_add_f64 v[46:47], v[46:47], v[102:103]
	v_add_f64 v[64:65], v[64:65], v[34:35]
	v_fmac_f64_e32 v[76:77], s[14:15], v[38:39]
	v_add_f64 v[30:31], v[30:31], v[32:33]
	v_fmac_f64_e32 v[2:3], s[2:3], v[38:39]
	v_add_f64 v[46:47], v[46:47], v[104:105]
	v_add_f64 v[64:65], v[64:65], v[36:37]
	v_fmac_f64_e32 v[76:77], s[8:9], v[30:31]
	v_fmac_f64_e32 v[2:3], s[8:9], v[30:31]
	ds_write_b128 v92, v[16:19]
	ds_write_b128 v92, v[20:23] offset:5376
	ds_write_b128 v92, v[24:27] offset:10752
	;; [unrolled: 1-line block ×14, first 2 shown]
	s_waitcnt lgkmcnt(0)
	s_barrier
	s_and_saveexec_b64 s[2:3], s[0:1]
	s_cbranch_execz .LBB0_41
; %bb.40:
	v_mul_lo_u32 v0, s11, v86
	v_mul_lo_u32 v1, s10, v87
	v_mad_u64_u32 v[4:5], s[0:1], s10, v86, 0
	v_lshl_add_u32 v12, v88, 4, 0
	v_add3_u32 v5, v5, v1, v0
	ds_read_b128 v[0:3], v12
	v_lshl_add_u64 v[4:5], v[4:5], 4, s[6:7]
	v_mov_b32_e32 v89, v29
	v_lshl_add_u64 v[8:9], v[84:85], 4, v[4:5]
	ds_read_b128 v[4:7], v12 offset:1792
	v_lshl_add_u64 v[10:11], v[88:89], 4, v[8:9]
	s_waitcnt lgkmcnt(1)
	global_store_dwordx4 v[10:11], v[0:3], off
	ds_read_b128 v[0:3], v12 offset:3584
	v_add_u32_e32 v28, 0x70, v88
	v_lshl_add_u64 v[10:11], v[28:29], 4, v[8:9]
	v_add_u32_e32 v28, 0xe0, v88
	s_waitcnt lgkmcnt(1)
	global_store_dwordx4 v[10:11], v[4:7], off
	ds_read_b128 v[4:7], v12 offset:5376
	v_lshl_add_u64 v[10:11], v[28:29], 4, v[8:9]
	s_waitcnt lgkmcnt(1)
	global_store_dwordx4 v[10:11], v[0:3], off
	ds_read_b128 v[0:3], v12 offset:7168
	v_add_u32_e32 v28, 0x150, v88
	v_lshl_add_u64 v[10:11], v[28:29], 4, v[8:9]
	v_add_u32_e32 v28, 0x1c0, v88
	s_waitcnt lgkmcnt(1)
	global_store_dwordx4 v[10:11], v[4:7], off
	;; [unrolled: 10-line block ×7, first 2 shown]
	s_nop 1
	v_lshl_add_u64 v[4:5], v[28:29], 4, v[8:9]
	s_waitcnt lgkmcnt(0)
	global_store_dwordx4 v[4:5], v[0:3], off
.LBB0_41:
	s_endpgm
	.section	.rodata,"a",@progbits
	.p2align	6, 0x0
	.amdhsa_kernel fft_rtc_back_len1680_factors_2_2_2_2_3_7_5_wgs_112_tpt_112_halfLds_dp_op_CI_CI_unitstride_sbrr_C2R_dirReg
		.amdhsa_group_segment_fixed_size 0
		.amdhsa_private_segment_fixed_size 0
		.amdhsa_kernarg_size 104
		.amdhsa_user_sgpr_count 2
		.amdhsa_user_sgpr_dispatch_ptr 0
		.amdhsa_user_sgpr_queue_ptr 0
		.amdhsa_user_sgpr_kernarg_segment_ptr 1
		.amdhsa_user_sgpr_dispatch_id 0
		.amdhsa_user_sgpr_kernarg_preload_length 0
		.amdhsa_user_sgpr_kernarg_preload_offset 0
		.amdhsa_user_sgpr_private_segment_size 0
		.amdhsa_uses_dynamic_stack 0
		.amdhsa_enable_private_segment 0
		.amdhsa_system_sgpr_workgroup_id_x 1
		.amdhsa_system_sgpr_workgroup_id_y 0
		.amdhsa_system_sgpr_workgroup_id_z 0
		.amdhsa_system_sgpr_workgroup_info 0
		.amdhsa_system_vgpr_workitem_id 0
		.amdhsa_next_free_vgpr 124
		.amdhsa_next_free_sgpr 31
		.amdhsa_accum_offset 124
		.amdhsa_reserve_vcc 1
		.amdhsa_float_round_mode_32 0
		.amdhsa_float_round_mode_16_64 0
		.amdhsa_float_denorm_mode_32 3
		.amdhsa_float_denorm_mode_16_64 3
		.amdhsa_dx10_clamp 1
		.amdhsa_ieee_mode 1
		.amdhsa_fp16_overflow 0
		.amdhsa_tg_split 0
		.amdhsa_exception_fp_ieee_invalid_op 0
		.amdhsa_exception_fp_denorm_src 0
		.amdhsa_exception_fp_ieee_div_zero 0
		.amdhsa_exception_fp_ieee_overflow 0
		.amdhsa_exception_fp_ieee_underflow 0
		.amdhsa_exception_fp_ieee_inexact 0
		.amdhsa_exception_int_div_zero 0
	.end_amdhsa_kernel
	.text
.Lfunc_end0:
	.size	fft_rtc_back_len1680_factors_2_2_2_2_3_7_5_wgs_112_tpt_112_halfLds_dp_op_CI_CI_unitstride_sbrr_C2R_dirReg, .Lfunc_end0-fft_rtc_back_len1680_factors_2_2_2_2_3_7_5_wgs_112_tpt_112_halfLds_dp_op_CI_CI_unitstride_sbrr_C2R_dirReg
                                        ; -- End function
	.section	.AMDGPU.csdata,"",@progbits
; Kernel info:
; codeLenInByte = 13680
; NumSgprs: 37
; NumVgprs: 124
; NumAgprs: 0
; TotalNumVgprs: 124
; ScratchSize: 0
; MemoryBound: 0
; FloatMode: 240
; IeeeMode: 1
; LDSByteSize: 0 bytes/workgroup (compile time only)
; SGPRBlocks: 4
; VGPRBlocks: 15
; NumSGPRsForWavesPerEU: 37
; NumVGPRsForWavesPerEU: 124
; AccumOffset: 124
; Occupancy: 4
; WaveLimiterHint : 1
; COMPUTE_PGM_RSRC2:SCRATCH_EN: 0
; COMPUTE_PGM_RSRC2:USER_SGPR: 2
; COMPUTE_PGM_RSRC2:TRAP_HANDLER: 0
; COMPUTE_PGM_RSRC2:TGID_X_EN: 1
; COMPUTE_PGM_RSRC2:TGID_Y_EN: 0
; COMPUTE_PGM_RSRC2:TGID_Z_EN: 0
; COMPUTE_PGM_RSRC2:TIDIG_COMP_CNT: 0
; COMPUTE_PGM_RSRC3_GFX90A:ACCUM_OFFSET: 30
; COMPUTE_PGM_RSRC3_GFX90A:TG_SPLIT: 0
	.text
	.p2alignl 6, 3212836864
	.fill 256, 4, 3212836864
	.type	__hip_cuid_604e475c81102aa0,@object ; @__hip_cuid_604e475c81102aa0
	.section	.bss,"aw",@nobits
	.globl	__hip_cuid_604e475c81102aa0
__hip_cuid_604e475c81102aa0:
	.byte	0                               ; 0x0
	.size	__hip_cuid_604e475c81102aa0, 1

	.ident	"AMD clang version 19.0.0git (https://github.com/RadeonOpenCompute/llvm-project roc-6.4.0 25133 c7fe45cf4b819c5991fe208aaa96edf142730f1d)"
	.section	".note.GNU-stack","",@progbits
	.addrsig
	.addrsig_sym __hip_cuid_604e475c81102aa0
	.amdgpu_metadata
---
amdhsa.kernels:
  - .agpr_count:     0
    .args:
      - .actual_access:  read_only
        .address_space:  global
        .offset:         0
        .size:           8
        .value_kind:     global_buffer
      - .offset:         8
        .size:           8
        .value_kind:     by_value
      - .actual_access:  read_only
        .address_space:  global
        .offset:         16
        .size:           8
        .value_kind:     global_buffer
      - .actual_access:  read_only
        .address_space:  global
        .offset:         24
        .size:           8
        .value_kind:     global_buffer
      - .actual_access:  read_only
        .address_space:  global
        .offset:         32
        .size:           8
        .value_kind:     global_buffer
      - .offset:         40
        .size:           8
        .value_kind:     by_value
      - .actual_access:  read_only
        .address_space:  global
        .offset:         48
        .size:           8
        .value_kind:     global_buffer
      - .actual_access:  read_only
        .address_space:  global
        .offset:         56
        .size:           8
        .value_kind:     global_buffer
      - .offset:         64
        .size:           4
        .value_kind:     by_value
      - .actual_access:  read_only
        .address_space:  global
        .offset:         72
        .size:           8
        .value_kind:     global_buffer
      - .actual_access:  read_only
        .address_space:  global
        .offset:         80
        .size:           8
        .value_kind:     global_buffer
      - .actual_access:  read_only
        .address_space:  global
        .offset:         88
        .size:           8
        .value_kind:     global_buffer
      - .actual_access:  write_only
        .address_space:  global
        .offset:         96
        .size:           8
        .value_kind:     global_buffer
    .group_segment_fixed_size: 0
    .kernarg_segment_align: 8
    .kernarg_segment_size: 104
    .language:       OpenCL C
    .language_version:
      - 2
      - 0
    .max_flat_workgroup_size: 112
    .name:           fft_rtc_back_len1680_factors_2_2_2_2_3_7_5_wgs_112_tpt_112_halfLds_dp_op_CI_CI_unitstride_sbrr_C2R_dirReg
    .private_segment_fixed_size: 0
    .sgpr_count:     37
    .sgpr_spill_count: 0
    .symbol:         fft_rtc_back_len1680_factors_2_2_2_2_3_7_5_wgs_112_tpt_112_halfLds_dp_op_CI_CI_unitstride_sbrr_C2R_dirReg.kd
    .uniform_work_group_size: 1
    .uses_dynamic_stack: false
    .vgpr_count:     124
    .vgpr_spill_count: 0
    .wavefront_size: 64
amdhsa.target:   amdgcn-amd-amdhsa--gfx950
amdhsa.version:
  - 1
  - 2
...

	.end_amdgpu_metadata
